;; amdgpu-corpus repo=ROCm/rocFFT kind=compiled arch=gfx906 opt=O3
	.text
	.amdgcn_target "amdgcn-amd-amdhsa--gfx906"
	.amdhsa_code_object_version 6
	.protected	fft_rtc_fwd_len1156_factors_17_2_17_2_wgs_204_tpt_68_halfLds_half_op_CI_CI_unitstride_sbrr_C2R_dirReg ; -- Begin function fft_rtc_fwd_len1156_factors_17_2_17_2_wgs_204_tpt_68_halfLds_half_op_CI_CI_unitstride_sbrr_C2R_dirReg
	.globl	fft_rtc_fwd_len1156_factors_17_2_17_2_wgs_204_tpt_68_halfLds_half_op_CI_CI_unitstride_sbrr_C2R_dirReg
	.p2align	8
	.type	fft_rtc_fwd_len1156_factors_17_2_17_2_wgs_204_tpt_68_halfLds_half_op_CI_CI_unitstride_sbrr_C2R_dirReg,@function
fft_rtc_fwd_len1156_factors_17_2_17_2_wgs_204_tpt_68_halfLds_half_op_CI_CI_unitstride_sbrr_C2R_dirReg: ; @fft_rtc_fwd_len1156_factors_17_2_17_2_wgs_204_tpt_68_halfLds_half_op_CI_CI_unitstride_sbrr_C2R_dirReg
; %bb.0:
	s_load_dwordx4 s[8:11], s[4:5], 0x58
	s_load_dwordx4 s[12:15], s[4:5], 0x0
	;; [unrolled: 1-line block ×3, first 2 shown]
	v_mul_u32_u24_e32 v1, 0x3c4, v0
	v_lshrrev_b32_e32 v1, 16, v1
	v_mad_u64_u32 v[3:4], s[0:1], s6, 3, v[1:2]
	v_mov_b32_e32 v9, 0
	v_mov_b32_e32 v4, v9
	s_waitcnt lgkmcnt(0)
	v_cmp_lt_u64_e64 s[0:1], s[14:15], 2
	v_mov_b32_e32 v7, 0
	v_mov_b32_e32 v8, 0
	;; [unrolled: 1-line block ×4, first 2 shown]
	s_and_b64 vcc, exec, s[0:1]
	v_mov_b32_e32 v2, v8
	v_mov_b32_e32 v5, v3
	s_cbranch_vccnz .LBB0_8
; %bb.1:
	s_load_dwordx2 s[0:1], s[4:5], 0x10
	s_add_u32 s2, s18, 8
	s_addc_u32 s3, s19, 0
	s_add_u32 s6, s16, 8
	s_addc_u32 s7, s17, 0
	v_mov_b32_e32 v7, 0
	s_waitcnt lgkmcnt(0)
	s_add_u32 s20, s0, 8
	v_mov_b32_e32 v8, 0
	v_mov_b32_e32 v1, v7
	;; [unrolled: 1-line block ×3, first 2 shown]
	s_addc_u32 s21, s1, 0
	s_mov_b64 s[22:23], 1
	v_mov_b32_e32 v2, v8
	v_mov_b32_e32 v11, v3
.LBB0_2:                                ; =>This Inner Loop Header: Depth=1
	s_load_dwordx2 s[24:25], s[20:21], 0x0
                                        ; implicit-def: $vgpr5_vgpr6
	s_waitcnt lgkmcnt(0)
	v_or_b32_e32 v10, s25, v12
	v_cmp_ne_u64_e32 vcc, 0, v[9:10]
	s_and_saveexec_b64 s[0:1], vcc
	s_xor_b64 s[26:27], exec, s[0:1]
	s_cbranch_execz .LBB0_4
; %bb.3:                                ;   in Loop: Header=BB0_2 Depth=1
	v_cvt_f32_u32_e32 v4, s24
	v_cvt_f32_u32_e32 v5, s25
	s_sub_u32 s0, 0, s24
	s_subb_u32 s1, 0, s25
	v_mac_f32_e32 v4, 0x4f800000, v5
	v_rcp_f32_e32 v4, v4
	v_mul_f32_e32 v4, 0x5f7ffffc, v4
	v_mul_f32_e32 v5, 0x2f800000, v4
	v_trunc_f32_e32 v5, v5
	v_mac_f32_e32 v4, 0xcf800000, v5
	v_cvt_u32_f32_e32 v5, v5
	v_cvt_u32_f32_e32 v4, v4
	v_mul_lo_u32 v6, s0, v5
	v_mul_hi_u32 v10, s0, v4
	v_mul_lo_u32 v14, s1, v4
	v_mul_lo_u32 v13, s0, v4
	v_add_u32_e32 v6, v10, v6
	v_add_u32_e32 v6, v6, v14
	v_mul_hi_u32 v10, v4, v13
	v_mul_lo_u32 v14, v4, v6
	v_mul_hi_u32 v16, v4, v6
	v_mul_hi_u32 v15, v5, v13
	v_mul_lo_u32 v13, v5, v13
	v_mul_hi_u32 v17, v5, v6
	v_add_co_u32_e32 v10, vcc, v10, v14
	v_addc_co_u32_e32 v14, vcc, 0, v16, vcc
	v_mul_lo_u32 v6, v5, v6
	v_add_co_u32_e32 v10, vcc, v10, v13
	v_addc_co_u32_e32 v10, vcc, v14, v15, vcc
	v_addc_co_u32_e32 v13, vcc, 0, v17, vcc
	v_add_co_u32_e32 v6, vcc, v10, v6
	v_addc_co_u32_e32 v10, vcc, 0, v13, vcc
	v_add_co_u32_e32 v4, vcc, v4, v6
	v_addc_co_u32_e32 v5, vcc, v5, v10, vcc
	v_mul_lo_u32 v6, s0, v5
	v_mul_hi_u32 v10, s0, v4
	v_mul_lo_u32 v13, s1, v4
	v_mul_lo_u32 v14, s0, v4
	v_add_u32_e32 v6, v10, v6
	v_add_u32_e32 v6, v6, v13
	v_mul_lo_u32 v15, v4, v6
	v_mul_hi_u32 v16, v4, v14
	v_mul_hi_u32 v17, v4, v6
	;; [unrolled: 1-line block ×3, first 2 shown]
	v_mul_lo_u32 v14, v5, v14
	v_mul_hi_u32 v10, v5, v6
	v_add_co_u32_e32 v15, vcc, v16, v15
	v_addc_co_u32_e32 v16, vcc, 0, v17, vcc
	v_mul_lo_u32 v6, v5, v6
	v_add_co_u32_e32 v14, vcc, v15, v14
	v_addc_co_u32_e32 v13, vcc, v16, v13, vcc
	v_addc_co_u32_e32 v10, vcc, 0, v10, vcc
	v_add_co_u32_e32 v6, vcc, v13, v6
	v_addc_co_u32_e32 v10, vcc, 0, v10, vcc
	v_add_co_u32_e32 v6, vcc, v4, v6
	v_addc_co_u32_e32 v10, vcc, v5, v10, vcc
	v_mad_u64_u32 v[4:5], s[0:1], v11, v10, 0
	v_mul_hi_u32 v13, v11, v6
	v_add_co_u32_e32 v15, vcc, v13, v4
	v_addc_co_u32_e32 v16, vcc, 0, v5, vcc
	v_mad_u64_u32 v[4:5], s[0:1], v12, v6, 0
	v_mad_u64_u32 v[13:14], s[0:1], v12, v10, 0
	v_add_co_u32_e32 v4, vcc, v15, v4
	v_addc_co_u32_e32 v4, vcc, v16, v5, vcc
	v_addc_co_u32_e32 v5, vcc, 0, v14, vcc
	v_add_co_u32_e32 v10, vcc, v4, v13
	v_addc_co_u32_e32 v6, vcc, 0, v5, vcc
	v_mul_lo_u32 v13, s25, v10
	v_mul_lo_u32 v14, s24, v6
	v_mad_u64_u32 v[4:5], s[0:1], s24, v10, 0
	v_add3_u32 v5, v5, v14, v13
	v_sub_u32_e32 v13, v12, v5
	v_mov_b32_e32 v14, s25
	v_sub_co_u32_e32 v4, vcc, v11, v4
	v_subb_co_u32_e64 v13, s[0:1], v13, v14, vcc
	v_subrev_co_u32_e64 v14, s[0:1], s24, v4
	v_subbrev_co_u32_e64 v13, s[0:1], 0, v13, s[0:1]
	v_cmp_le_u32_e64 s[0:1], s25, v13
	v_cndmask_b32_e64 v15, 0, -1, s[0:1]
	v_cmp_le_u32_e64 s[0:1], s24, v14
	v_cndmask_b32_e64 v14, 0, -1, s[0:1]
	v_cmp_eq_u32_e64 s[0:1], s25, v13
	v_cndmask_b32_e64 v13, v15, v14, s[0:1]
	v_add_co_u32_e64 v14, s[0:1], 2, v10
	v_addc_co_u32_e64 v15, s[0:1], 0, v6, s[0:1]
	v_add_co_u32_e64 v16, s[0:1], 1, v10
	v_addc_co_u32_e64 v17, s[0:1], 0, v6, s[0:1]
	v_subb_co_u32_e32 v5, vcc, v12, v5, vcc
	v_cmp_ne_u32_e64 s[0:1], 0, v13
	v_cmp_le_u32_e32 vcc, s25, v5
	v_cndmask_b32_e64 v13, v17, v15, s[0:1]
	v_cndmask_b32_e64 v15, 0, -1, vcc
	v_cmp_le_u32_e32 vcc, s24, v4
	v_cndmask_b32_e64 v4, 0, -1, vcc
	v_cmp_eq_u32_e32 vcc, s25, v5
	v_cndmask_b32_e32 v4, v15, v4, vcc
	v_cmp_ne_u32_e32 vcc, 0, v4
	v_cndmask_b32_e64 v4, v16, v14, s[0:1]
	v_cndmask_b32_e32 v6, v6, v13, vcc
	v_cndmask_b32_e32 v5, v10, v4, vcc
.LBB0_4:                                ;   in Loop: Header=BB0_2 Depth=1
	s_andn2_saveexec_b64 s[0:1], s[26:27]
	s_cbranch_execz .LBB0_6
; %bb.5:                                ;   in Loop: Header=BB0_2 Depth=1
	v_cvt_f32_u32_e32 v4, s24
	s_sub_i32 s26, 0, s24
	v_rcp_iflag_f32_e32 v4, v4
	v_mul_f32_e32 v4, 0x4f7ffffe, v4
	v_cvt_u32_f32_e32 v4, v4
	v_mul_lo_u32 v5, s26, v4
	v_mul_hi_u32 v5, v4, v5
	v_add_u32_e32 v4, v4, v5
	v_mul_hi_u32 v4, v11, v4
	v_mul_lo_u32 v5, v4, s24
	v_add_u32_e32 v6, 1, v4
	v_sub_u32_e32 v5, v11, v5
	v_subrev_u32_e32 v10, s24, v5
	v_cmp_le_u32_e32 vcc, s24, v5
	v_cndmask_b32_e32 v5, v5, v10, vcc
	v_cndmask_b32_e32 v4, v4, v6, vcc
	v_add_u32_e32 v6, 1, v4
	v_cmp_le_u32_e32 vcc, s24, v5
	v_cndmask_b32_e32 v5, v4, v6, vcc
	v_mov_b32_e32 v6, v9
.LBB0_6:                                ;   in Loop: Header=BB0_2 Depth=1
	s_or_b64 exec, exec, s[0:1]
	v_mul_lo_u32 v4, v6, s24
	v_mul_lo_u32 v10, v5, s25
	v_mad_u64_u32 v[13:14], s[0:1], v5, s24, 0
	s_load_dwordx2 s[0:1], s[6:7], 0x0
	s_load_dwordx2 s[24:25], s[2:3], 0x0
	v_add3_u32 v4, v14, v10, v4
	v_sub_co_u32_e32 v10, vcc, v11, v13
	v_subb_co_u32_e32 v4, vcc, v12, v4, vcc
	s_waitcnt lgkmcnt(0)
	v_mul_lo_u32 v11, s0, v4
	v_mul_lo_u32 v12, s1, v10
	v_mad_u64_u32 v[7:8], s[0:1], s0, v10, v[7:8]
	s_add_u32 s22, s22, 1
	s_addc_u32 s23, s23, 0
	s_add_u32 s2, s2, 8
	v_mul_lo_u32 v4, s24, v4
	v_mul_lo_u32 v13, s25, v10
	v_mad_u64_u32 v[1:2], s[0:1], s24, v10, v[1:2]
	v_add3_u32 v8, v12, v8, v11
	s_addc_u32 s3, s3, 0
	v_mov_b32_e32 v10, s14
	s_add_u32 s6, s6, 8
	v_mov_b32_e32 v11, s15
	s_addc_u32 s7, s7, 0
	v_cmp_ge_u64_e32 vcc, s[22:23], v[10:11]
	s_add_u32 s20, s20, 8
	v_add3_u32 v2, v13, v2, v4
	s_addc_u32 s21, s21, 0
	s_cbranch_vccnz .LBB0_8
; %bb.7:                                ;   in Loop: Header=BB0_2 Depth=1
	v_mov_b32_e32 v12, v6
	v_mov_b32_e32 v11, v5
	s_branch .LBB0_2
.LBB0_8:
	s_mov_b32 s0, 0xaaaaaaab
	s_load_dwordx2 s[2:3], s[4:5], 0x28
	v_mul_hi_u32 v4, v3, s0
	s_lshl_b64 s[6:7], s[14:15], 3
	s_add_u32 s4, s18, s6
	s_addc_u32 s5, s19, s7
	v_lshrrev_b32_e32 v4, 1, v4
	v_lshl_add_u32 v4, v4, 1, v4
	s_waitcnt lgkmcnt(0)
	v_cmp_gt_u64_e64 s[0:1], s[2:3], v[5:6]
	v_cmp_le_u64_e32 vcc, s[2:3], v[5:6]
	v_sub_u32_e32 v11, v3, v4
                                        ; implicit-def: $vgpr3
                                        ; implicit-def: $vgpr9_vgpr10
	s_and_saveexec_b64 s[2:3], vcc
	s_xor_b64 s[2:3], exec, s[2:3]
; %bb.9:
	s_mov_b32 s14, 0x3c3c3c4
	v_mul_hi_u32 v3, v0, s14
	v_mov_b32_e32 v4, 0
                                        ; implicit-def: $vgpr7_vgpr8
	v_mul_u32_u24_e32 v3, 0x44, v3
	v_sub_u32_e32 v3, v0, v3
	v_mov_b32_e32 v10, v4
	v_mov_b32_e32 v9, v3
                                        ; implicit-def: $vgpr0
; %bb.10:
	s_or_saveexec_b64 s[2:3], s[2:3]
	s_load_dwordx2 s[4:5], s[4:5], 0x0
	v_mul_u32_u24_e32 v26, 0x485, v11
	v_lshlrev_b32_e32 v25, 2, v26
	s_xor_b64 exec, exec, s[2:3]
	s_cbranch_execz .LBB0_14
; %bb.11:
	s_add_u32 s6, s16, s6
	s_addc_u32 s7, s17, s7
	s_load_dwordx2 s[6:7], s[6:7], 0x0
	s_mov_b32 s14, 0x3c3c3c4
	v_mul_hi_u32 v3, v0, s14
	v_lshlrev_b64 v[7:8], 2, v[7:8]
	s_waitcnt lgkmcnt(0)
	v_mul_lo_u32 v4, s7, v5
	v_mul_lo_u32 v11, s6, v6
	v_mad_u64_u32 v[9:10], s[6:7], s6, v5, 0
	v_mul_u32_u24_e32 v3, 0x44, v3
	v_sub_u32_e32 v3, v0, v3
	v_add3_u32 v10, v10, v11, v4
	v_lshlrev_b64 v[9:10], 2, v[9:10]
	v_mov_b32_e32 v0, s9
	v_add_co_u32_e32 v4, vcc, s8, v9
	v_addc_co_u32_e32 v0, vcc, v0, v10, vcc
	v_add_co_u32_e32 v7, vcc, v4, v7
	v_addc_co_u32_e32 v0, vcc, v0, v8, vcc
	v_lshlrev_b32_e32 v12, 2, v3
	v_add_co_u32_e32 v8, vcc, v7, v12
	v_addc_co_u32_e32 v9, vcc, 0, v0, vcc
	v_add_co_u32_e32 v10, vcc, 0x1000, v8
	global_load_dword v13, v[8:9], off offset:1360
	global_load_dword v14, v[8:9], off offset:1632
	;; [unrolled: 1-line block ×3, first 2 shown]
	global_load_dword v16, v[8:9], off
	global_load_dword v17, v[8:9], off offset:272
	global_load_dword v18, v[8:9], off offset:544
	;; [unrolled: 1-line block ×4, first 2 shown]
	v_addc_co_u32_e32 v11, vcc, 0, v9, vcc
	global_load_dword v21, v[8:9], off offset:2176
	global_load_dword v22, v[8:9], off offset:2448
	;; [unrolled: 1-line block ×9, first 2 shown]
	v_add3_u32 v8, 0, v25, v12
	v_mov_b32_e32 v4, 0
	v_add_u32_e32 v9, 0x400, v8
	v_add_u32_e32 v10, 0x800, v8
	s_movk_i32 s6, 0x43
	v_add_u32_e32 v11, 0xc00, v8
	v_cmp_eq_u32_e32 vcc, s6, v3
	s_waitcnt vmcnt(12)
	ds_write2_b32 v8, v16, v17 offset1:68
	s_waitcnt vmcnt(10)
	ds_write2_b32 v9, v19, v13 offset0:16 offset1:84
	ds_write2_b32 v9, v14, v15 offset0:152 offset1:220
	s_waitcnt vmcnt(9)
	ds_write2_b32 v8, v18, v20 offset0:136 offset1:204
	s_waitcnt vmcnt(7)
	;; [unrolled: 2-line block ×6, first 2 shown]
	ds_write_b32 v8, v31 offset:4352
	v_mov_b32_e32 v10, v4
	v_mov_b32_e32 v9, v3
	s_and_saveexec_b64 s[6:7], vcc
	s_cbranch_execz .LBB0_13
; %bb.12:
	v_add_co_u32_e32 v3, vcc, 0x1000, v7
	v_addc_co_u32_e32 v4, vcc, 0, v0, vcc
	global_load_dword v0, v[3:4], off offset:528
	v_mov_b32_e32 v9, 0x43
	v_mov_b32_e32 v10, 0
	;; [unrolled: 1-line block ×3, first 2 shown]
	s_waitcnt vmcnt(0)
	ds_write_b32 v8, v0 offset:4356
.LBB0_13:
	s_or_b64 exec, exec, s[6:7]
.LBB0_14:
	s_or_b64 exec, exec, s[2:3]
	v_lshl_add_u32 v0, v26, 2, 0
	v_lshlrev_b32_e32 v4, 2, v3
	v_add_u32_e32 v27, v0, v4
	s_waitcnt lgkmcnt(0)
	s_barrier
	v_sub_u32_e32 v13, v0, v4
	ds_read_u16 v4, v27
	ds_read_u16 v11, v13 offset:4624
	s_add_u32 s6, s12, 0x11cc
	v_lshlrev_b64 v[7:8], 2, v[9:10]
	s_addc_u32 s7, s13, 0
	v_cmp_ne_u32_e32 vcc, 0, v3
	s_waitcnt lgkmcnt(0)
	v_add_f16_e32 v14, v11, v4
	v_sub_f16_e32 v15, v4, v11
	s_and_saveexec_b64 s[2:3], vcc
	s_xor_b64 s[2:3], exec, s[2:3]
	s_cbranch_execz .LBB0_16
; %bb.15:
	v_mov_b32_e32 v10, s7
	v_add_co_u32_e32 v9, vcc, s6, v7
	v_addc_co_u32_e32 v10, vcc, v10, v8, vcc
	global_load_dword v9, v[9:10], off
	ds_read_u16 v10, v13 offset:4626
	ds_read_u16 v12, v27 offset:2
	v_add_f16_e32 v14, v11, v4
	v_sub_f16_e32 v4, v4, v11
	s_waitcnt lgkmcnt(0)
	v_add_f16_e32 v11, v10, v12
	v_sub_f16_e32 v10, v12, v10
	s_waitcnt vmcnt(0)
	v_lshrrev_b32_e32 v12, 16, v9
	v_fma_f16 v15, v4, v12, v14
	v_fma_f16 v16, v11, v12, v10
	v_fma_f16 v17, -v4, v12, v14
	v_fma_f16 v10, v11, v12, -v10
	v_fma_f16 v14, -v9, v11, v15
	v_fma_f16 v15, v4, v9, v16
	v_fma_f16 v11, v9, v11, v17
	;; [unrolled: 1-line block ×3, first 2 shown]
	v_pack_b32_f16 v4, v11, v4
	ds_write_b32 v13, v4 offset:4624
.LBB0_16:
	s_andn2_saveexec_b64 s[2:3], s[2:3]
	s_cbranch_execz .LBB0_18
; %bb.17:
	ds_read_b32 v4, v0 offset:2312
	s_mov_b32 s8, 0xc0004000
	s_waitcnt lgkmcnt(0)
	v_pk_mul_f16 v4, v4, s8
	ds_write_b32 v0, v4 offset:2312
.LBB0_18:
	s_or_b64 exec, exec, s[2:3]
	v_mov_b32_e32 v4, 0
	v_lshlrev_b64 v[9:10], 2, v[3:4]
	v_mov_b32_e32 v4, s7
	v_add_co_u32_e32 v11, vcc, s6, v9
	v_addc_co_u32_e32 v12, vcc, v4, v10, vcc
	global_load_dword v4, v[11:12], off offset:272
	global_load_dword v16, v[11:12], off offset:544
	global_load_dword v17, v[11:12], off offset:816
	global_load_dword v18, v[11:12], off offset:1088
	s_mov_b32 s2, 0x5040100
	v_perm_b32 v14, v15, v14, s2
	ds_write_b32 v27, v14
	ds_read_b32 v14, v27 offset:272
	ds_read_b32 v15, v13 offset:4352
	global_load_dword v19, v[11:12], off offset:1360
	global_load_dword v20, v[11:12], off offset:1632
	;; [unrolled: 1-line block ×3, first 2 shown]
	v_cmp_gt_u32_e64 s[2:3], 34, v3
	s_waitcnt lgkmcnt(0)
	v_add_f16_e32 v22, v14, v15
	v_add_f16_sdwa v23, v15, v14 dst_sel:DWORD dst_unused:UNUSED_PAD src0_sel:WORD_1 src1_sel:WORD_1
	v_sub_f16_e32 v24, v14, v15
	v_sub_f16_sdwa v14, v14, v15 dst_sel:DWORD dst_unused:UNUSED_PAD src0_sel:WORD_1 src1_sel:WORD_1
	s_waitcnt vmcnt(6)
	v_lshrrev_b32_e32 v15, 16, v4
	v_fma_f16 v28, v24, v15, v22
	v_fma_f16 v22, -v24, v15, v22
	v_fma_f16 v29, v23, v15, v14
	v_fma_f16 v14, v23, v15, -v14
	v_fma_f16 v15, -v4, v23, v28
	v_fma_f16 v22, v4, v23, v22
	v_fma_f16 v23, v24, v4, v29
	v_fma_f16 v4, v24, v4, v14
	v_pack_b32_f16 v14, v15, v23
	v_pack_b32_f16 v4, v22, v4
	ds_write_b32 v27, v14 offset:272
	ds_write_b32 v13, v4 offset:4352
	ds_read_b32 v4, v27 offset:544
	ds_read_b32 v14, v13 offset:4080
	s_waitcnt vmcnt(5)
	v_lshrrev_b32_e32 v15, 16, v16
	s_waitcnt lgkmcnt(0)
	v_add_f16_e32 v22, v4, v14
	v_add_f16_sdwa v23, v14, v4 dst_sel:DWORD dst_unused:UNUSED_PAD src0_sel:WORD_1 src1_sel:WORD_1
	v_sub_f16_e32 v24, v4, v14
	v_sub_f16_sdwa v4, v4, v14 dst_sel:DWORD dst_unused:UNUSED_PAD src0_sel:WORD_1 src1_sel:WORD_1
	v_fma_f16 v14, v24, v15, v22
	v_fma_f16 v28, v23, v15, v4
	v_fma_f16 v22, -v24, v15, v22
	v_fma_f16 v4, v23, v15, -v4
	v_fma_f16 v14, -v16, v23, v14
	v_fma_f16 v15, v24, v16, v28
	v_fma_f16 v22, v16, v23, v22
	v_fma_f16 v4, v24, v16, v4
	v_pack_b32_f16 v14, v14, v15
	v_pack_b32_f16 v4, v22, v4
	ds_write_b32 v27, v14 offset:544
	ds_write_b32 v13, v4 offset:4080
	ds_read_b32 v4, v27 offset:816
	ds_read_b32 v14, v13 offset:3808
	s_waitcnt vmcnt(4)
	v_lshrrev_b32_e32 v15, 16, v17
	s_waitcnt lgkmcnt(0)
	v_add_f16_e32 v16, v4, v14
	v_add_f16_sdwa v22, v14, v4 dst_sel:DWORD dst_unused:UNUSED_PAD src0_sel:WORD_1 src1_sel:WORD_1
	v_sub_f16_e32 v23, v4, v14
	v_sub_f16_sdwa v4, v4, v14 dst_sel:DWORD dst_unused:UNUSED_PAD src0_sel:WORD_1 src1_sel:WORD_1
	v_fma_f16 v14, v23, v15, v16
	v_fma_f16 v24, v22, v15, v4
	v_fma_f16 v16, -v23, v15, v16
	;; [unrolled: 21-line block ×6, first 2 shown]
	v_fma_f16 v4, v17, v15, -v4
	v_fma_f16 v14, -v21, v17, v14
	v_fma_f16 v15, v18, v21, v19
	v_fma_f16 v16, v21, v17, v16
	;; [unrolled: 1-line block ×3, first 2 shown]
	v_pack_b32_f16 v14, v14, v15
	v_pack_b32_f16 v4, v16, v4
	ds_write_b32 v27, v14 offset:1904
	ds_write_b32 v13, v4 offset:2720
	s_and_saveexec_b64 s[6:7], s[2:3]
	s_cbranch_execz .LBB0_20
; %bb.19:
	global_load_dword v4, v[11:12], off offset:2176
	ds_read_b32 v11, v27 offset:2176
	ds_read_b32 v12, v13 offset:2448
	s_waitcnt lgkmcnt(0)
	v_add_f16_e32 v14, v11, v12
	v_add_f16_sdwa v15, v12, v11 dst_sel:DWORD dst_unused:UNUSED_PAD src0_sel:WORD_1 src1_sel:WORD_1
	v_sub_f16_e32 v16, v11, v12
	v_sub_f16_sdwa v11, v11, v12 dst_sel:DWORD dst_unused:UNUSED_PAD src0_sel:WORD_1 src1_sel:WORD_1
	s_waitcnt vmcnt(0)
	v_lshrrev_b32_e32 v12, 16, v4
	v_fma_f16 v17, v16, v12, v14
	v_fma_f16 v18, v15, v12, v11
	v_fma_f16 v14, -v16, v12, v14
	v_fma_f16 v11, v15, v12, -v11
	v_fma_f16 v12, -v4, v15, v17
	v_fma_f16 v17, v16, v4, v18
	v_fma_f16 v14, v4, v15, v14
	;; [unrolled: 1-line block ×3, first 2 shown]
	v_pack_b32_f16 v11, v12, v17
	v_pack_b32_f16 v4, v14, v4
	ds_write_b32 v27, v11 offset:2176
	ds_write_b32 v13, v4 offset:2448
.LBB0_20:
	s_or_b64 exec, exec, s[6:7]
	v_lshl_add_u32 v28, v3, 2, 0
	v_add_u32_e32 v4, v28, v25
	v_mul_u32_u24_e32 v11, 0x44, v3
	v_add_u32_e32 v19, 0x600, v4
	v_add_u32_e32 v20, 0x800, v4
	;; [unrolled: 1-line block ×5, first 2 shown]
	s_waitcnt lgkmcnt(0)
	s_barrier
	s_barrier
	ds_read2_b32 v[34:35], v4 offset0:68 offset1:136
	v_add3_u32 v21, 0, v11, v25
	ds_read2_b32 v[11:12], v19 offset0:92 offset1:160
	ds_read2_b32 v[13:14], v20 offset0:100 offset1:168
	;; [unrolled: 1-line block ×5, first 2 shown]
	ds_read_b32 v29, v27
	v_add_u32_e32 v22, 0x200, v4
	ds_read2_b32 v[42:43], v22 offset0:76 offset1:144
	v_add_u32_e32 v24, 0x400, v4
	ds_read2_b32 v[17:18], v24 offset0:84 offset1:152
	s_waitcnt lgkmcnt(2)
	v_pk_add_f16 v30, v29, v34
	v_pk_add_f16 v30, v30, v35
	s_waitcnt lgkmcnt(1)
	v_pk_add_f16 v30, v30, v42
	v_pk_add_f16 v30, v30, v43
	;; [unrolled: 3-line block ×3, first 2 shown]
	v_pk_add_f16 v30, v30, v11
	v_pk_add_f16 v30, v30, v12
	;; [unrolled: 1-line block ×10, first 2 shown]
	v_pk_add_f16 v30, v34, v41 neg_lo:[0,1] neg_hi:[0,1]
	s_mov_b32 s27, 0xb5c8
	v_pk_add_f16 v32, v41, v34
	v_mul_f16_sdwa v33, v30, s27 dst_sel:DWORD dst_unused:UNUSED_PAD src0_sel:WORD_1 src1_sel:DWORD
	s_movk_i32 s6, 0x3b76
	v_fma_f16 v34, v32, s6, -v33
	v_fma_f16 v33, v32, s6, v33
	s_mov_b32 s7, 0x3b7639e9
	v_add_f16_e32 v41, v29, v33
	v_pk_mul_f16 v33, v32, s7
	s_mov_b32 s7, 0xb964b5c8
	v_pk_fma_f16 v39, v30, s7, v33 op_sel:[0,0,1] op_sel_hi:[1,1,0] neg_lo:[1,0,0] neg_hi:[1,0,0]
	v_pk_fma_f16 v33, v30, s7, v33 op_sel:[0,0,1] op_sel_hi:[1,1,0]
	s_mov_b32 s8, 0xffff
	v_add_f16_e32 v36, v29, v34
	v_bfi_b32 v34, s8, v33, v39
	v_pk_add_f16 v44, v29, v34 op_sel:[1,0] op_sel_hi:[0,1]
	v_lshrrev_b32_e32 v34, 16, v32
	v_mul_f16_e32 v45, 0xb964, v30
	s_movk_i32 s9, 0x39e9
	v_pk_add_f16 v47, v29, v33 op_sel:[1,0] op_sel_hi:[0,1]
	v_fma_f16 v33, v34, s9, -v45
	s_mov_b32 s26, 0xbb29
	v_fma_f16 v46, v34, s9, v45
	v_add_f16_sdwa v45, v29, v33 dst_sel:DWORD dst_unused:UNUSED_PAD src0_sel:WORD_1 src1_sel:DWORD
	v_mul_f16_sdwa v33, v30, s26 dst_sel:DWORD dst_unused:UNUSED_PAD src0_sel:WORD_1 src1_sel:DWORD
	s_movk_i32 s7, 0x3722
	v_fma_f16 v48, v32, s7, -v33
	v_mul_f16_e32 v49, 0xbb29, v30
	v_fma_f16 v33, v32, s7, v33
	v_add_f16_e32 v51, v29, v33
	v_fma_f16 v33, v34, s7, -v49
	s_mov_b32 s28, 0xbbf7
	v_fma_f16 v50, v34, s7, v49
	v_add_f16_sdwa v49, v29, v33 dst_sel:DWORD dst_unused:UNUSED_PAD src0_sel:WORD_1 src1_sel:DWORD
	v_mul_f16_sdwa v33, v30, s28 dst_sel:DWORD dst_unused:UNUSED_PAD src0_sel:WORD_1 src1_sel:DWORD
	s_movk_i32 s14, 0x2de8
	v_fma_f16 v52, v32, s14, -v33
	v_mul_f16_e32 v53, 0xbbf7, v30
	v_fma_f16 v33, v32, s14, v33
	v_add_f16_e32 v55, v29, v33
	v_fma_f16 v33, v34, s14, -v53
	s_mov_b32 s15, 0xbbb2
	v_fma_f16 v54, v34, s14, v53
	v_add_f16_sdwa v53, v29, v33 dst_sel:DWORD dst_unused:UNUSED_PAD src0_sel:WORD_1 src1_sel:DWORD
	v_mul_f16_sdwa v33, v30, s15 dst_sel:DWORD dst_unused:UNUSED_PAD src0_sel:WORD_1 src1_sel:DWORD
	s_mov_b32 s16, 0xb461
	v_fma_f16 v56, v32, s16, -v33
	v_mul_f16_e32 v57, 0xbbb2, v30
	v_fma_f16 v33, v32, s16, v33
	v_add_f16_e32 v59, v29, v33
	v_fma_f16 v33, v34, s16, -v57
	s_mov_b32 s17, 0xba62
	v_fma_f16 v58, v34, s16, v57
	v_add_f16_sdwa v57, v29, v33 dst_sel:DWORD dst_unused:UNUSED_PAD src0_sel:WORD_1 src1_sel:DWORD
	v_mul_f16_sdwa v33, v30, s17 dst_sel:DWORD dst_unused:UNUSED_PAD src0_sel:WORD_1 src1_sel:DWORD
	s_mov_b32 s18, 0xb8d2
	;; [unrolled: 10-line block ×3, first 2 shown]
	v_fma_f16 v64, v32, s20, -v33
	v_mul_f16_e32 v65, 0xb836, v30
	v_fma_f16 v33, v32, s20, v33
	v_add_f16_e32 v67, v29, v33
	v_fma_f16 v33, v34, s20, -v65
	s_mov_b32 s29, 0xb964
	v_fma_f16 v66, v34, s20, v65
	v_add_f16_sdwa v65, v29, v33 dst_sel:DWORD dst_unused:UNUSED_PAD src0_sel:WORD_1 src1_sel:DWORD
	v_pk_add_f16 v33, v35, v40 neg_lo:[0,1] neg_hi:[0,1]
	v_pk_add_f16 v34, v40, v35
	v_mul_f16_sdwa v35, v33, s29 dst_sel:DWORD dst_unused:UNUSED_PAD src0_sel:WORD_1 src1_sel:DWORD
	v_fma_f16 v40, v34, s9, -v35
	v_fma_f16 v35, v34, s9, v35
	s_mov_b32 s21, 0x39e92de8
	v_add_f16_e32 v41, v35, v41
	v_pk_mul_f16 v35, v34, s21
	s_mov_b32 s21, 0xbbf7b964
	v_add_f16_e32 v68, v40, v36
	v_pk_fma_f16 v40, v33, s21, v35 op_sel:[0,0,1] op_sel_hi:[1,1,0] neg_lo:[1,0,0] neg_hi:[1,0,0]
	v_pk_fma_f16 v35, v33, s21, v35 op_sel:[0,0,1] op_sel_hi:[1,1,0]
	v_bfi_b32 v36, s8, v35, v40
	v_pk_add_f16 v44, v36, v44
	v_lshrrev_b32_e32 v36, 16, v34
	v_mul_f16_e32 v69, 0xbbf7, v33
	v_pk_add_f16 v47, v35, v47
	v_fma_f16 v35, v36, s14, -v69
	v_add_f16_e32 v45, v35, v45
	v_mul_f16_sdwa v35, v33, s17 dst_sel:DWORD dst_unused:UNUSED_PAD src0_sel:WORD_1 src1_sel:DWORD
	v_add_f16_e32 v48, v29, v48
	v_fma_f16 v70, v36, s14, v69
	v_fma_f16 v69, v34, s18, -v35
	v_add_f16_e32 v48, v69, v48
	v_mul_f16_e32 v69, 0xba62, v33
	v_fma_f16 v35, v34, s18, v35
	v_add_f16_e32 v51, v35, v51
	v_fma_f16 v35, v36, s18, -v69
	s_mov_b32 s21, 0xb1e1
	v_add_f16_sdwa v46, v29, v46 dst_sel:DWORD dst_unused:UNUSED_PAD src0_sel:WORD_1 src1_sel:DWORD
	v_add_f16_e32 v49, v35, v49
	v_mul_f16_sdwa v35, v33, s21 dst_sel:DWORD dst_unused:UNUSED_PAD src0_sel:WORD_1 src1_sel:DWORD
	s_mov_b32 s22, 0xbbdd
	v_add_f16_e32 v52, v29, v52
	v_add_f16_e32 v46, v70, v46
	v_fma_f16 v70, v36, s18, v69
	v_fma_f16 v69, v34, s22, -v35
	v_add_f16_e32 v52, v69, v52
	v_mul_f16_e32 v69, 0xb1e1, v33
	v_fma_f16 v35, v34, s22, v35
	v_add_f16_e32 v55, v35, v55
	v_fma_f16 v35, v36, s22, -v69
	s_movk_i32 s23, 0x3836
	v_add_f16_sdwa v50, v29, v50 dst_sel:DWORD dst_unused:UNUSED_PAD src0_sel:WORD_1 src1_sel:DWORD
	v_add_f16_e32 v53, v35, v53
	v_mul_f16_sdwa v35, v33, s23 dst_sel:DWORD dst_unused:UNUSED_PAD src0_sel:WORD_1 src1_sel:DWORD
	v_add_f16_e32 v56, v29, v56
	v_add_f16_e32 v50, v70, v50
	v_fma_f16 v70, v36, s22, v69
	v_fma_f16 v69, v34, s20, -v35
	v_add_f16_e32 v56, v69, v56
	v_mul_f16_e32 v69, 0x3836, v33
	v_fma_f16 v35, v34, s20, v35
	v_add_f16_e32 v59, v35, v59
	v_fma_f16 v35, v36, s20, -v69
	s_movk_i32 s25, 0x3bb2
	v_add_f16_sdwa v54, v29, v54 dst_sel:DWORD dst_unused:UNUSED_PAD src0_sel:WORD_1 src1_sel:DWORD
	v_add_f16_e32 v57, v35, v57
	v_mul_f16_sdwa v35, v33, s25 dst_sel:DWORD dst_unused:UNUSED_PAD src0_sel:WORD_1 src1_sel:DWORD
	;; [unrolled: 13-line block ×3, first 2 shown]
	v_add_f16_e32 v64, v29, v64
	v_add_f16_e32 v58, v70, v58
	v_fma_f16 v70, v36, s16, v69
	v_fma_f16 v69, v34, s7, -v35
	v_add_f16_e32 v64, v69, v64
	v_mul_f16_e32 v69, 0x3b29, v33
	v_fma_f16 v35, v34, s7, v35
	v_add_f16_e32 v67, v35, v67
	v_fma_f16 v35, v36, s7, -v69
	v_add_f16_sdwa v62, v29, v62 dst_sel:DWORD dst_unused:UNUSED_PAD src0_sel:WORD_1 src1_sel:DWORD
	v_add_f16_e32 v65, v35, v65
	v_pk_add_f16 v35, v42, v38 neg_lo:[0,1] neg_hi:[0,1]
	v_add_f16_e32 v62, v70, v62
	v_fma_f16 v70, v36, s7, v69
	v_pk_add_f16 v36, v38, v42
	v_mul_f16_sdwa v38, v35, s26 dst_sel:DWORD dst_unused:UNUSED_PAD src0_sel:WORD_1 src1_sel:DWORD
	v_fma_f16 v42, v36, s7, -v38
	v_fma_f16 v38, v36, s7, v38
	s_mov_b32 s24, 0x3722b8d2
	v_add_f16_e32 v42, v42, v68
	v_add_f16_e32 v68, v38, v41
	v_pk_mul_f16 v38, v36, s24
	s_mov_b32 s24, 0xba62bb29
	v_pk_fma_f16 v41, v35, s24, v38 op_sel:[0,0,1] op_sel_hi:[1,1,0] neg_lo:[1,0,0] neg_hi:[1,0,0]
	v_pk_fma_f16 v38, v35, s24, v38 op_sel:[0,0,1] op_sel_hi:[1,1,0]
	v_add_f16_sdwa v66, v29, v66 dst_sel:DWORD dst_unused:UNUSED_PAD src0_sel:WORD_1 src1_sel:DWORD
	v_bfi_b32 v69, s8, v38, v41
	v_add_f16_e32 v66, v70, v66
	v_pk_add_f16 v69, v69, v44
	v_lshrrev_b32_e32 v44, 16, v36
	v_mul_f16_e32 v70, 0xba62, v35
	v_pk_add_f16 v47, v38, v47
	v_fma_f16 v38, v44, s18, -v70
	s_movk_i32 s24, 0x31e1
	v_add_f16_e32 v45, v38, v45
	v_mul_f16_sdwa v38, v35, s24 dst_sel:DWORD dst_unused:UNUSED_PAD src0_sel:WORD_1 src1_sel:DWORD
	v_fma_f16 v71, v44, s18, v70
	v_fma_f16 v70, v36, s22, -v38
	v_add_f16_e32 v48, v70, v48
	v_mul_f16_e32 v70, 0x31e1, v35
	v_fma_f16 v38, v36, s22, v38
	v_add_f16_e32 v51, v38, v51
	v_fma_f16 v38, v44, s22, -v70
	v_add_f16_e32 v49, v38, v49
	v_mul_f16_sdwa v38, v35, s25 dst_sel:DWORD dst_unused:UNUSED_PAD src0_sel:WORD_1 src1_sel:DWORD
	v_add_f16_e32 v46, v71, v46
	v_fma_f16 v71, v44, s22, v70
	v_fma_f16 v70, v36, s16, -v38
	v_add_f16_e32 v52, v70, v52
	v_mul_f16_e32 v70, 0x3bb2, v35
	v_fma_f16 v38, v36, s16, v38
	v_add_f16_e32 v55, v38, v55
	v_fma_f16 v38, v44, s16, -v70
	s_movk_i32 s24, 0x3964
	v_add_f16_e32 v53, v38, v53
	v_mul_f16_sdwa v38, v35, s24 dst_sel:DWORD dst_unused:UNUSED_PAD src0_sel:WORD_1 src1_sel:DWORD
	v_add_f16_e32 v50, v71, v50
	v_fma_f16 v71, v44, s16, v70
	v_fma_f16 v70, v36, s9, -v38
	v_add_f16_e32 v56, v70, v56
	v_mul_f16_e32 v70, 0x3964, v35
	v_fma_f16 v38, v36, s9, v38
	v_add_f16_e32 v59, v38, v59
	v_fma_f16 v38, v44, s9, -v70
	v_add_f16_e32 v57, v38, v57
	v_mul_f16_sdwa v38, v35, s27 dst_sel:DWORD dst_unused:UNUSED_PAD src0_sel:WORD_1 src1_sel:DWORD
	v_add_f16_e32 v54, v71, v54
	v_fma_f16 v71, v44, s9, v70
	v_fma_f16 v70, v36, s6, -v38
	v_add_f16_e32 v60, v70, v60
	v_mul_f16_e32 v70, 0xb5c8, v35
	v_fma_f16 v38, v36, s6, v38
	v_add_f16_e32 v63, v38, v63
	v_fma_f16 v38, v44, s6, -v70
	;; [unrolled: 10-line block ×3, first 2 shown]
	v_add_f16_e32 v65, v38, v65
	v_pk_add_f16 v38, v37, v43
	v_pk_add_f16 v37, v43, v37 neg_lo:[0,1] neg_hi:[0,1]
	v_mul_f16_sdwa v43, v37, s28 dst_sel:DWORD dst_unused:UNUSED_PAD src0_sel:WORD_1 src1_sel:DWORD
	v_add_f16_e32 v62, v71, v62
	v_fma_f16 v71, v44, s14, v70
	v_fma_f16 v44, v38, s14, -v43
	v_add_f16_e32 v70, v44, v42
	v_fma_f16 v42, v38, s14, v43
	s_mov_b32 s30, 0x2de8bbdd
	v_add_f16_e32 v43, v42, v68
	v_pk_mul_f16 v42, v38, s30
	s_mov_b32 s30, 0xb1e1bbf7
	v_pk_fma_f16 v44, v37, s30, v42 op_sel:[0,0,1] op_sel_hi:[1,1,0] neg_lo:[1,0,0] neg_hi:[1,0,0]
	v_pk_fma_f16 v42, v37, s30, v42 op_sel:[0,0,1] op_sel_hi:[1,1,0]
	v_bfi_b32 v68, s8, v42, v44
	v_add_f16_e32 v66, v71, v66
	v_pk_add_f16 v68, v68, v69
	v_lshrrev_b32_e32 v69, 16, v38
	v_mul_f16_e32 v71, 0xb1e1, v37
	v_pk_add_f16 v47, v42, v47
	v_fma_f16 v42, v69, s22, -v71
	v_add_f16_e32 v45, v42, v45
	v_mul_f16_sdwa v42, v37, s25 dst_sel:DWORD dst_unused:UNUSED_PAD src0_sel:WORD_1 src1_sel:DWORD
	v_fma_f16 v72, v69, s22, v71
	v_fma_f16 v71, v38, s16, -v42
	v_add_f16_e32 v71, v71, v48
	v_mul_f16_e32 v48, 0x3bb2, v37
	v_fma_f16 v42, v38, s16, v42
	v_add_f16_e32 v51, v42, v51
	v_fma_f16 v42, v69, s16, -v48
	s_movk_i32 s25, 0x35c8
	v_add_f16_e32 v49, v42, v49
	v_mul_f16_sdwa v42, v37, s25 dst_sel:DWORD dst_unused:UNUSED_PAD src0_sel:WORD_1 src1_sel:DWORD
	v_add_f16_e32 v46, v72, v46
	v_fma_f16 v72, v69, s16, v48
	v_fma_f16 v48, v38, s6, -v42
	v_add_f16_e32 v52, v48, v52
	v_mul_f16_e32 v48, 0x35c8, v37
	v_fma_f16 v42, v38, s6, v42
	v_add_f16_e32 v55, v42, v55
	v_fma_f16 v42, v69, s6, -v48
	v_add_f16_e32 v53, v42, v53
	v_mul_f16_sdwa v42, v37, s26 dst_sel:DWORD dst_unused:UNUSED_PAD src0_sel:WORD_1 src1_sel:DWORD
	v_add_f16_e32 v50, v72, v50
	v_fma_f16 v72, v69, s6, v48
	v_fma_f16 v48, v38, s7, -v42
	v_add_f16_e32 v56, v48, v56
	v_mul_f16_e32 v48, 0xbb29, v37
	v_fma_f16 v42, v38, s7, v42
	v_add_f16_e32 v59, v42, v59
	v_fma_f16 v42, v69, s7, -v48
	v_add_f16_e32 v57, v42, v57
	v_mul_f16_sdwa v42, v37, s19 dst_sel:DWORD dst_unused:UNUSED_PAD src0_sel:WORD_1 src1_sel:DWORD
	v_add_f16_e32 v54, v72, v54
	v_fma_f16 v72, v69, s7, v48
	v_fma_f16 v48, v38, s20, -v42
	v_add_f16_e32 v60, v48, v60
	v_mul_f16_e32 v48, 0xb836, v37
	v_fma_f16 v42, v38, s20, v42
	v_add_f16_e32 v63, v42, v63
	v_fma_f16 v42, v69, s20, -v48
	s_movk_i32 s30, 0x3a62
	v_add_f16_e32 v61, v42, v61
	v_mul_f16_sdwa v42, v37, s30 dst_sel:DWORD dst_unused:UNUSED_PAD src0_sel:WORD_1 src1_sel:DWORD
	v_add_f16_e32 v58, v72, v58
	v_fma_f16 v72, v69, s20, v48
	v_fma_f16 v48, v38, s18, -v42
	v_add_f16_e32 v64, v48, v64
	v_mul_f16_e32 v48, 0x3a62, v37
	v_fma_f16 v42, v38, s18, v42
	v_add_f16_e32 v67, v42, v67
	v_fma_f16 v42, v69, s18, -v48
	v_add_f16_e32 v65, v42, v65
	v_pk_add_f16 v42, v16, v17
	v_pk_add_f16 v17, v17, v16 neg_lo:[0,1] neg_hi:[0,1]
	v_mul_f16_sdwa v16, v17, s15 dst_sel:DWORD dst_unused:UNUSED_PAD src0_sel:WORD_1 src1_sel:DWORD
	v_add_f16_e32 v62, v72, v62
	v_fma_f16 v72, v69, s18, v48
	v_fma_f16 v48, v42, s16, -v16
	v_fma_f16 v16, v42, s16, v16
	s_mov_b32 s31, 0xb461bacd
	v_add_f16_e32 v16, v16, v43
	v_pk_mul_f16 v43, v42, s31
	s_mov_b32 s31, 0x3836bbb2
	v_add_f16_e32 v69, v48, v70
	v_pk_fma_f16 v48, v17, s31, v43 op_sel:[0,0,1] op_sel_hi:[1,1,0] neg_lo:[1,0,0] neg_hi:[1,0,0]
	v_pk_fma_f16 v43, v17, s31, v43 op_sel:[0,0,1] op_sel_hi:[1,1,0]
	v_bfi_b32 v70, s8, v43, v48
	v_add_f16_e32 v66, v72, v66
	v_pk_add_f16 v68, v70, v68
	v_lshrrev_b32_e32 v70, 16, v42
	v_mul_f16_e32 v72, 0x3836, v17
	v_pk_add_f16 v43, v43, v47
	v_fma_f16 v47, v70, s20, -v72
	v_add_f16_e32 v47, v47, v45
	v_mul_f16_sdwa v45, v17, s24 dst_sel:DWORD dst_unused:UNUSED_PAD src0_sel:WORD_1 src1_sel:DWORD
	v_fma_f16 v73, v70, s20, v72
	v_fma_f16 v72, v42, s9, -v45
	v_add_f16_e32 v71, v72, v71
	v_mul_f16_e32 v72, 0x3964, v17
	v_fma_f16 v45, v42, s9, v45
	v_add_f16_e32 v51, v45, v51
	v_fma_f16 v45, v70, s9, -v72
	v_add_f16_e32 v49, v45, v49
	v_mul_f16_sdwa v45, v17, s26 dst_sel:DWORD dst_unused:UNUSED_PAD src0_sel:WORD_1 src1_sel:DWORD
	v_add_f16_e32 v46, v73, v46
	v_fma_f16 v73, v70, s9, v72
	v_fma_f16 v72, v42, s7, -v45
	v_add_f16_e32 v52, v72, v52
	v_mul_f16_e32 v72, 0xbb29, v17
	v_fma_f16 v45, v42, s7, v45
	v_add_f16_e32 v55, v45, v55
	v_fma_f16 v45, v70, s7, -v72
	v_add_f16_e32 v53, v45, v53
	v_mul_f16_sdwa v45, v17, s21 dst_sel:DWORD dst_unused:UNUSED_PAD src0_sel:WORD_1 src1_sel:DWORD
	v_add_f16_e32 v50, v73, v50
	v_fma_f16 v73, v70, s7, v72
	v_fma_f16 v72, v42, s22, -v45
	v_add_f16_e32 v56, v72, v56
	v_mul_f16_e32 v72, 0xb1e1, v17
	v_fma_f16 v45, v42, s22, v45
	v_add_f16_e32 v59, v45, v59
	v_fma_f16 v45, v70, s22, -v72
	s_movk_i32 s26, 0x3bf7
	v_add_f16_e32 v57, v45, v57
	v_mul_f16_sdwa v45, v17, s26 dst_sel:DWORD dst_unused:UNUSED_PAD src0_sel:WORD_1 src1_sel:DWORD
	v_add_f16_e32 v54, v73, v54
	v_fma_f16 v73, v70, s22, v72
	v_fma_f16 v72, v42, s14, -v45
	v_add_f16_e32 v60, v72, v60
	v_mul_f16_e32 v72, 0x3bf7, v17
	v_fma_f16 v45, v42, s14, v45
	v_add_f16_e32 v63, v45, v63
	v_fma_f16 v45, v70, s14, -v72
	v_add_f16_e32 v61, v45, v61
	v_mul_f16_sdwa v45, v17, s27 dst_sel:DWORD dst_unused:UNUSED_PAD src0_sel:WORD_1 src1_sel:DWORD
	v_add_f16_e32 v58, v73, v58
	v_fma_f16 v73, v70, s14, v72
	v_fma_f16 v72, v42, s6, -v45
	v_add_f16_e32 v64, v72, v64
	v_mul_f16_e32 v72, 0xb5c8, v17
	v_fma_f16 v45, v42, s6, v45
	v_add_f16_e32 v67, v45, v67
	v_fma_f16 v45, v70, s6, -v72
	v_add_f16_e32 v65, v45, v65
	v_pk_add_f16 v45, v15, v18
	v_pk_add_f16 v18, v18, v15 neg_lo:[0,1] neg_hi:[0,1]
	v_mul_f16_sdwa v15, v18, s17 dst_sel:DWORD dst_unused:UNUSED_PAD src0_sel:WORD_1 src1_sel:DWORD
	v_add_f16_e32 v62, v73, v62
	v_fma_f16 v73, v70, s6, v72
	v_fma_f16 v70, v45, s18, -v15
	v_fma_f16 v15, v45, s18, v15
	s_mov_b32 s31, 0xb8d2b461
	v_add_f16_e32 v69, v70, v69
	v_add_f16_e32 v70, v15, v16
	v_pk_mul_f16 v15, v45, s31
	s_mov_b32 s31, 0x3bb2ba62
	v_pk_fma_f16 v72, v18, s31, v15 op_sel:[0,0,1] op_sel_hi:[1,1,0] neg_lo:[1,0,0] neg_hi:[1,0,0]
	v_pk_fma_f16 v15, v18, s31, v15 op_sel:[0,0,1] op_sel_hi:[1,1,0]
	v_bfi_b32 v16, s8, v15, v72
	v_add_f16_e32 v66, v73, v66
	v_pk_add_f16 v68, v16, v68
	v_lshrrev_b32_e32 v73, 16, v45
	v_mul_f16_e32 v16, 0x3bb2, v18
	v_fma_f16 v74, v73, s16, v16
	v_fma_f16 v16, v73, s16, -v16
	v_pk_add_f16 v15, v15, v43
	v_add_f16_e32 v43, v16, v47
	v_mul_f16_sdwa v16, v18, s27 dst_sel:DWORD dst_unused:UNUSED_PAD src0_sel:WORD_1 src1_sel:DWORD
	v_add_f16_e32 v74, v74, v46
	v_fma_f16 v46, v45, s6, -v16
	v_add_f16_e32 v71, v46, v71
	v_mul_f16_e32 v46, 0xb5c8, v18
	v_fma_f16 v16, v45, s6, v16
	v_fma_f16 v47, v73, s6, v46
	v_add_f16_e32 v51, v16, v51
	v_fma_f16 v16, v73, s6, -v46
	v_mul_f16_sdwa v46, v18, s19 dst_sel:DWORD dst_unused:UNUSED_PAD src0_sel:WORD_1 src1_sel:DWORD
	v_add_f16_e32 v50, v47, v50
	v_fma_f16 v47, v45, s20, -v46
	v_add_f16_e32 v16, v16, v49
	v_add_f16_e32 v49, v47, v52
	v_mul_f16_e32 v47, 0xb836, v18
	v_fma_f16 v52, v73, s20, v47
	v_fma_f16 v46, v45, s20, v46
	v_add_f16_e32 v52, v52, v54
	v_add_f16_e32 v54, v46, v55
	v_fma_f16 v46, v73, s20, -v47
	v_add_f16_e32 v53, v46, v53
	v_mul_f16_sdwa v46, v18, s26 dst_sel:DWORD dst_unused:UNUSED_PAD src0_sel:WORD_1 src1_sel:DWORD
	v_fma_f16 v47, v45, s14, -v46
	v_add_f16_e32 v55, v47, v56
	v_mul_f16_e32 v47, 0x3bf7, v18
	v_fma_f16 v56, v73, s14, v47
	v_fma_f16 v46, v45, s14, v46
	v_add_f16_e32 v56, v56, v58
	v_add_f16_e32 v58, v46, v59
	v_fma_f16 v46, v73, s14, -v47
	v_add_f16_e32 v57, v46, v57
	v_mul_f16_sdwa v46, v18, s29 dst_sel:DWORD dst_unused:UNUSED_PAD src0_sel:WORD_1 src1_sel:DWORD
	v_fma_f16 v47, v45, s9, -v46
	v_add_f16_e32 v59, v47, v60
	v_mul_f16_e32 v47, 0xb964, v18
	v_fma_f16 v60, v73, s9, v47
	v_fma_f16 v46, v45, s9, v46
	v_add_f16_e32 v60, v60, v62
	v_add_f16_e32 v62, v46, v63
	v_fma_f16 v46, v73, s9, -v47
	v_add_f16_e32 v61, v46, v61
	v_mul_f16_sdwa v46, v18, s21 dst_sel:DWORD dst_unused:UNUSED_PAD src0_sel:WORD_1 src1_sel:DWORD
	v_fma_f16 v47, v45, s22, -v46
	v_add_f16_e32 v63, v47, v64
	v_mul_f16_e32 v47, 0xb1e1, v18
	v_fma_f16 v64, v73, s22, v47
	v_fma_f16 v46, v45, s22, v46
	v_add_f16_e32 v64, v64, v66
	v_add_f16_e32 v66, v46, v67
	v_fma_f16 v46, v73, s22, -v47
	v_add_f16_e32 v65, v46, v65
	v_pk_add_f16 v46, v11, v14 neg_lo:[0,1] neg_hi:[0,1]
	v_pk_add_f16 v47, v14, v11
	v_mul_f16_sdwa v11, v46, s19 dst_sel:DWORD dst_unused:UNUSED_PAD src0_sel:WORD_1 src1_sel:DWORD
	v_fma_f16 v14, v47, s20, -v11
	v_fma_f16 v11, v47, s20, v11
	s_mov_b32 s29, 0xbacd3722
	v_add_f16_e32 v67, v14, v69
	v_add_f16_e32 v69, v11, v70
	v_pk_mul_f16 v11, v47, s29
	s_mov_b32 s29, 0x3b29b836
	v_pk_fma_f16 v70, v46, s29, v11 op_sel:[0,0,1] op_sel_hi:[1,1,0] neg_lo:[1,0,0] neg_hi:[1,0,0]
	v_pk_fma_f16 v11, v46, s29, v11 op_sel:[0,0,1] op_sel_hi:[1,1,0]
	v_bfi_b32 v14, s8, v11, v70
	v_pk_add_f16 v68, v14, v68
	v_lshrrev_b32_e32 v73, 16, v47
	v_mul_f16_e32 v14, 0x3b29, v46
	v_fma_f16 v75, v73, s7, v14
	v_fma_f16 v14, v73, s7, -v14
	v_add_f16_e32 v74, v75, v74
	v_add_f16_e32 v75, v14, v43
	v_mul_f16_sdwa v14, v46, s28 dst_sel:DWORD dst_unused:UNUSED_PAD src0_sel:WORD_1 src1_sel:DWORD
	v_fma_f16 v43, v47, s14, -v14
	v_add_f16_e32 v71, v43, v71
	v_mul_f16_e32 v43, 0xbbf7, v46
	v_fma_f16 v14, v47, s14, v14
	v_fma_f16 v76, v73, s14, v43
	v_add_f16_e32 v51, v14, v51
	v_fma_f16 v14, v73, s14, -v43
	v_mul_f16_sdwa v43, v46, s30 dst_sel:DWORD dst_unused:UNUSED_PAD src0_sel:WORD_1 src1_sel:DWORD
	v_add_f16_e32 v50, v76, v50
	v_fma_f16 v76, v47, s18, -v43
	v_add_f16_e32 v49, v76, v49
	v_mul_f16_e32 v76, 0x3a62, v46
	v_fma_f16 v77, v73, s18, v76
	v_fma_f16 v43, v47, s18, v43
	v_add_f16_e32 v52, v77, v52
	v_add_f16_e32 v77, v43, v54
	v_fma_f16 v43, v73, s18, -v76
	v_add_f16_e32 v76, v43, v53
	v_mul_f16_sdwa v43, v46, s27 dst_sel:DWORD dst_unused:UNUSED_PAD src0_sel:WORD_1 src1_sel:DWORD
	v_fma_f16 v53, v47, s6, -v43
	v_add_f16_e32 v55, v53, v55
	v_mul_f16_e32 v53, 0xb5c8, v46
	v_fma_f16 v43, v47, s6, v43
	v_add_f16_e32 v58, v43, v58
	v_fma_f16 v43, v73, s6, -v53
	v_add_f16_e32 v57, v43, v57
	v_mul_f16_sdwa v43, v46, s21 dst_sel:DWORD dst_unused:UNUSED_PAD src0_sel:WORD_1 src1_sel:DWORD
	v_fma_f16 v54, v73, s6, v53
	v_fma_f16 v53, v47, s22, -v43
	v_add_f16_e32 v59, v53, v59
	v_mul_f16_e32 v53, 0xb1e1, v46
	v_fma_f16 v43, v47, s22, v43
	v_add_f16_e32 v62, v43, v62
	v_fma_f16 v43, v73, s22, -v53
	v_add_f16_e32 v61, v43, v61
	v_mul_f16_sdwa v43, v46, s24 dst_sel:DWORD dst_unused:UNUSED_PAD src0_sel:WORD_1 src1_sel:DWORD
	v_add_f16_e32 v56, v54, v56
	v_fma_f16 v54, v73, s22, v53
	v_fma_f16 v53, v47, s9, -v43
	v_add_f16_e32 v63, v53, v63
	v_mul_f16_e32 v53, 0x3964, v46
	v_fma_f16 v43, v47, s9, v43
	v_add_f16_sdwa v39, v29, v39 dst_sel:DWORD dst_unused:UNUSED_PAD src0_sel:WORD_1 src1_sel:DWORD
	v_add_f16_e32 v60, v54, v60
	v_fma_f16 v54, v73, s9, v53
	v_add_f16_e32 v66, v43, v66
	v_fma_f16 v43, v73, s9, -v53
	v_pk_add_f16 v53, v12, v13 neg_lo:[0,1] neg_hi:[0,1]
	v_add_f16_e32 v39, v40, v39
	v_add_f16_e32 v64, v54, v64
	v_pk_add_f16 v54, v13, v12
	v_mul_f16_sdwa v12, v53, s21 dst_sel:DWORD dst_unused:UNUSED_PAD src0_sel:WORD_1 src1_sel:DWORD
	v_add_f16_e32 v39, v41, v39
	v_fma_f16 v13, v54, s22, -v12
	v_fma_f16 v12, v54, s22, v12
	s_mov_b32 s27, 0xbbdd3b76
	v_add_f16_e32 v39, v44, v39
	v_add_f16_e32 v65, v43, v65
	;; [unrolled: 1-line block ×3, first 2 shown]
	v_pk_mul_f16 v12, v54, s27
	s_mov_b32 s27, 0x35c8b1e1
	v_add_f16_e32 v39, v48, v39
	v_pk_fma_f16 v69, v53, s27, v12 op_sel:[0,0,1] op_sel_hi:[1,1,0] neg_lo:[1,0,0] neg_hi:[1,0,0]
	v_add_f16_e32 v39, v72, v39
	v_pk_fma_f16 v40, v53, s27, v12 op_sel:[0,0,1] op_sel_hi:[1,1,0]
	v_add_f16_e32 v39, v70, v39
	v_bfi_b32 v40, s8, v40, v69
	v_add_f16_e32 v39, v69, v39
	v_pk_add_f16 v68, v40, v68
	v_lshrrev_b32_e32 v69, 16, v54
	v_mul_f16_e32 v40, 0x35c8, v53
	v_fma_f16 v41, v69, s6, v40
	v_mul_f16_sdwa v44, v53, s19 dst_sel:DWORD dst_unused:UNUSED_PAD src0_sel:WORD_1 src1_sel:DWORD
	v_add_f16_e32 v70, v41, v74
	v_fma_f16 v41, v54, s20, -v44
	v_add_f16_e32 v71, v41, v71
	v_mul_f16_e32 v41, 0xbacd, v69
	v_fma_f16 v72, v53, s19, v41
	v_add_f16_e32 v72, v72, v50
	v_fma_f16 v44, v54, s20, v44
	v_mul_f16_sdwa v50, v53, s24 dst_sel:DWORD dst_unused:UNUSED_PAD src0_sel:WORD_1 src1_sel:DWORD
	v_add_f16_e32 v44, v44, v51
	v_fma_f16 v51, v54, s9, -v50
	v_add_f16_e32 v73, v51, v49
	v_mul_f16_e32 v51, 0x3964, v53
	v_fma_f16 v49, v69, s9, v51
	v_add_f16_e32 v74, v49, v52
	v_fma_f16 v49, v54, s9, v50
	v_fma_f16 v50, v69, s9, -v51
	v_mul_f16_sdwa v51, v53, s17 dst_sel:DWORD dst_unused:UNUSED_PAD src0_sel:WORD_1 src1_sel:DWORD
	v_fma_f16 v52, v54, s18, -v51
	v_fma_f16 v40, v69, s6, -v40
	v_add_f16_e32 v55, v52, v55
	v_mul_f16_e32 v52, 0xba62, v53
	v_add_f16_e32 v40, v40, v75
	v_fma_f16 v75, v69, s18, v52
	v_fma_f16 v52, v69, s18, -v52
	v_fma_f16 v51, v54, s18, v51
	v_add_f16_e32 v52, v52, v57
	v_mul_f16_sdwa v57, v53, s23 dst_sel:DWORD dst_unused:UNUSED_PAD src0_sel:WORD_1 src1_sel:DWORD
	v_add_f16_e32 v51, v51, v58
	v_fma_f16 v58, v54, s7, -v57
	v_add_f16_e32 v58, v58, v59
	v_mul_f16_e32 v59, 0x3b29, v53
	v_add_f16_e32 v56, v75, v56
	v_fma_f16 v75, v69, s7, v59
	v_fma_f16 v59, v69, s7, -v59
	v_fma_f16 v57, v54, s7, v57
	v_add_f16_e32 v59, v59, v61
	v_mul_f16_sdwa v61, v53, s15 dst_sel:DWORD dst_unused:UNUSED_PAD src0_sel:WORD_1 src1_sel:DWORD
	v_add_f16_e32 v57, v57, v62
	v_fma_f16 v62, v54, s16, -v61
	v_add_f16_e32 v62, v62, v63
	v_mul_f16_e32 v63, 0xbbb2, v53
	v_add_f16_e32 v60, v75, v60
	v_fma_f16 v75, v69, s16, v63
	v_add_f16_e32 v64, v75, v64
	v_pack_b32_f16 v58, v58, v60
	v_pack_b32_f16 v55, v55, v56
	s_barrier
	ds_write2_b32 v21, v55, v58 offset0:5 offset1:6
	v_pack_b32_f16 v55, v62, v64
	ds_write2_b32 v21, v31, v55 offset1:7
	v_pk_mul_f16 v31, v32, s22 op_sel_hi:[1,0]
	v_pk_fma_f16 v32, v30, s21, v31 op_sel:[0,0,1] op_sel_hi:[1,0,0] neg_lo:[1,0,0] neg_hi:[1,0,0]
	v_pk_fma_f16 v30, v30, s21, v31 op_sel:[0,0,1] op_sel_hi:[1,0,0]
	v_pk_add_f16 v32, v29, v32 op_sel:[1,0] op_sel_hi:[0,1]
	v_pk_add_f16 v29, v29, v30 op_sel:[1,0] op_sel_hi:[0,1]
	v_pk_mul_f16 v30, v34, s6 op_sel_hi:[1,0]
	v_pk_fma_f16 v31, v33, s25, v30 op_sel:[0,0,1] op_sel_hi:[1,0,0] neg_lo:[1,0,0] neg_hi:[1,0,0]
	v_pk_fma_f16 v30, v33, s25, v30 op_sel:[0,0,1] op_sel_hi:[1,0,0]
	v_pk_add_f16 v29, v30, v29
	v_pk_mul_f16 v30, v36, s20 op_sel_hi:[1,0]
	v_pk_add_f16 v31, v31, v32
	v_pk_fma_f16 v32, v35, s19, v30 op_sel:[0,0,1] op_sel_hi:[1,0,0] neg_lo:[1,0,0] neg_hi:[1,0,0]
	v_pk_fma_f16 v30, v35, s19, v30 op_sel:[0,0,1] op_sel_hi:[1,0,0]
	v_pk_add_f16 v29, v30, v29
	v_pk_mul_f16 v30, v38, s9 op_sel_hi:[1,0]
	v_pk_add_f16 v31, v32, v31
	;; [unrolled: 5-line block ×3, first 2 shown]
	v_pk_fma_f16 v32, v17, s17, v30 op_sel:[0,0,1] op_sel_hi:[1,0,0] neg_lo:[1,0,0] neg_hi:[1,0,0]
	v_pk_fma_f16 v17, v17, s17, v30 op_sel:[0,0,1] op_sel_hi:[1,0,0]
	v_pk_add_f16 v17, v17, v29
	v_pk_mul_f16 v29, v45, s7 op_sel_hi:[1,0]
	v_pk_fma_f16 v30, v18, s23, v29 op_sel:[0,0,1] op_sel_hi:[1,0,0] neg_lo:[1,0,0] neg_hi:[1,0,0]
	v_pk_fma_f16 v18, v18, s23, v29 op_sel:[0,0,1] op_sel_hi:[1,0,0]
	v_add_f16_e32 v67, v13, v67
	v_pk_mul_f16 v13, v53, s27
	v_pk_add_f16 v17, v18, v17
	v_pk_mul_f16 v18, v47, s16 op_sel_hi:[1,0]
	v_mul_f16_e32 v48, 0xb836, v53
	v_pk_add_f16 v31, v32, v31
	v_pk_fma_f16 v29, v46, s15, v18 op_sel:[0,0,1] op_sel_hi:[1,0,0] neg_lo:[1,0,0] neg_hi:[1,0,0]
	v_pk_fma_f16 v18, v46, s15, v18 op_sel:[0,0,1] op_sel_hi:[1,0,0]
	v_pack_b32_f16 v12, v14, v12
	v_bfi_b32 v13, s8, v16, v13
	v_pk_add_f16 v30, v30, v31
	v_pk_add_f16 v17, v18, v17
	v_pk_mul_f16 v18, v54, s14 op_sel_hi:[1,0]
	v_pk_add_f16 v12, v12, v13
	v_bfi_b32 v13, s8, v48, v15
	v_pk_add_f16 v29, v29, v30
	v_pk_fma_f16 v30, v53, s26, v18 op_sel:[0,0,1] op_sel_hi:[1,0,0] neg_lo:[1,0,0] neg_hi:[1,0,0]
	v_pk_fma_f16 v18, v53, s26, v18 op_sel:[0,0,1] op_sel_hi:[1,0,0]
	v_pk_add_f16 v13, v41, v13 neg_lo:[0,1] neg_hi:[0,1]
	v_pk_add_f16 v11, v11, v15
	v_fma_f16 v61, v54, s16, v61
	v_fma_f16 v63, v69, s16, -v63
	v_pk_add_f16 v29, v30, v29
	v_pk_add_f16 v17, v18, v17
	v_bfi_b32 v11, s8, v13, v11
	v_add_f16_e32 v61, v61, v66
	v_add_f16_e32 v63, v63, v65
	v_alignbit_b32 v18, v29, v17, 16
	v_alignbit_b32 v17, v17, v29, 16
	v_pk_add_f16 v11, v11, v12
	v_add_f16_e32 v49, v49, v77
	v_add_f16_e32 v50, v50, v76
	v_alignbit_b32 v65, v70, v68, 16
	v_pack_b32_f16 v66, v67, v68
	ds_write2_b32 v21, v17, v18 offset0:8 offset1:9
	v_pack_b32_f16 v17, v57, v59
	v_pack_b32_f16 v18, v61, v63
	v_alignbit_b32 v12, v40, v11, 16
	v_pack_b32_f16 v11, v44, v11
	ds_write2_b32 v21, v66, v65 offset0:1 offset1:2
	v_pack_b32_f16 v65, v73, v74
	v_pack_b32_f16 v66, v71, v72
	ds_write2_b32 v21, v18, v17 offset0:10 offset1:11
	v_pack_b32_f16 v17, v49, v50
	;; [unrolled: 3-line block ×3, first 2 shown]
	ds_write2_b32 v21, v66, v65 offset0:3 offset1:4
	ds_write2_b32 v21, v18, v17 offset0:12 offset1:13
	ds_write_b32 v21, v11 offset:64
	s_waitcnt lgkmcnt(0)
	s_barrier
	ds_read2_b32 v[11:12], v19 offset0:92 offset1:194
	ds_read2_b32 v[13:14], v4 offset0:68 offset1:136
	;; [unrolled: 1-line block ×7, first 2 shown]
	ds_read_b32 v33, v27
	ds_read_b32 v32, v4 offset:4216
                                        ; implicit-def: $vgpr31
                                        ; implicit-def: $vgpr30
	s_and_saveexec_b64 s[6:7], s[2:3]
	s_cbranch_execz .LBB0_22
; %bb.21:
	ds_read_b32 v43, v4 offset:2176
	ds_read_b32 v30, v4 offset:4488
	s_waitcnt lgkmcnt(1)
	v_lshrrev_b32_e32 v39, 16, v43
	s_waitcnt lgkmcnt(0)
	v_lshrrev_b32_e32 v31, 16, v30
.LBB0_22:
	s_or_b64 exec, exec, s[6:7]
	v_add_u32_e32 v34, 0x198, v3
	s_mov_b32 s6, 0xf0f1
	v_mul_u32_u24_sdwa v35, v34, s6 dst_sel:DWORD dst_unused:UNUSED_PAD src0_sel:WORD_0 src1_sel:DWORD
	v_lshrrev_b32_e32 v40, 20, v35
	v_add_u32_e32 v29, 0x220, v3
	v_mul_lo_u16_e32 v35, 17, v40
	s_movk_i32 s7, 0xf1
	v_add_u16_e32 v45, 0x44, v3
	v_add_u16_e32 v46, 0x88, v3
	v_sub_u16_e32 v41, v34, v35
	v_mul_u32_u24_sdwa v34, v29, s6 dst_sel:DWORD dst_unused:UNUSED_PAD src0_sel:WORD_0 src1_sel:DWORD
	v_mul_lo_u16_sdwa v47, v46, s7 dst_sel:DWORD dst_unused:UNUSED_PAD src0_sel:BYTE_0 src1_sel:DWORD
	v_mul_lo_u16_sdwa v56, v45, s7 dst_sel:DWORD dst_unused:UNUSED_PAD src0_sel:BYTE_0 src1_sel:DWORD
	;; [unrolled: 1-line block ×3, first 2 shown]
	v_add_u32_e32 v38, 0x154, v3
	v_lshrrev_b32_e32 v34, 20, v34
	v_lshrrev_b16_e32 v47, 12, v47
	v_lshrrev_b16_e32 v56, 12, v56
	;; [unrolled: 1-line block ×3, first 2 shown]
	v_add_u32_e32 v37, 0x110, v3
	v_mul_lo_u16_e32 v35, 17, v34
	v_mul_u32_u24_sdwa v48, v38, s6 dst_sel:DWORD dst_unused:UNUSED_PAD src0_sel:WORD_0 src1_sel:DWORD
	v_mul_lo_u16_e32 v54, 17, v47
	v_mul_lo_u16_e32 v57, 17, v56
	;; [unrolled: 1-line block ×3, first 2 shown]
	v_add_u32_e32 v36, 0xcc, v3
	v_sub_u16_e32 v35, v29, v35
	v_lshrrev_b32_e32 v48, 20, v48
	v_mul_u32_u24_sdwa v50, v37, s6 dst_sel:DWORD dst_unused:UNUSED_PAD src0_sel:WORD_0 src1_sel:DWORD
	v_sub_u16_e32 v46, v46, v54
	v_mov_b32_e32 v54, 2
	v_sub_u16_e32 v45, v45, v57
	v_sub_u16_e32 v59, v3, v59
	v_lshlrev_b32_e32 v42, 2, v35
	v_lshlrev_b32_e32 v41, 2, v41
	v_mul_lo_u16_e32 v49, 17, v48
	v_lshrrev_b32_e32 v50, 20, v50
	v_mul_u32_u24_sdwa v52, v36, s6 dst_sel:DWORD dst_unused:UNUSED_PAD src0_sel:WORD_0 src1_sel:DWORD
	v_lshlrev_b32_sdwa v46, v54, v46 dst_sel:DWORD dst_unused:UNUSED_PAD src0_sel:DWORD src1_sel:BYTE_0
	v_lshlrev_b32_sdwa v45, v54, v45 dst_sel:DWORD dst_unused:UNUSED_PAD src0_sel:DWORD src1_sel:BYTE_0
	;; [unrolled: 1-line block ×3, first 2 shown]
	global_load_dword v42, v42, s[12:13]
	v_sub_u16_e32 v38, v38, v49
	v_mul_lo_u16_e32 v51, 17, v50
	v_lshrrev_b32_e32 v52, 20, v52
	global_load_dword v55, v46, s[12:13]
	global_load_dword v59, v54, s[12:13]
	;; [unrolled: 1-line block ×4, first 2 shown]
	v_lshlrev_b32_e32 v38, 2, v38
	global_load_dword v49, v38, s[12:13]
	v_sub_u16_e32 v37, v37, v51
	v_mul_lo_u16_e32 v53, 17, v52
	v_lshlrev_b32_e32 v37, 2, v37
	global_load_dword v51, v37, s[12:13]
	v_sub_u16_e32 v36, v36, v53
	v_lshlrev_b32_e32 v36, 2, v36
	global_load_dword v53, v36, s[12:13]
	v_add_u32_e32 v60, 0x1dc, v3
	v_mul_u32_u24_sdwa v61, v60, s6 dst_sel:DWORD dst_unused:UNUSED_PAD src0_sel:WORD_0 src1_sel:DWORD
	v_lshrrev_b32_e32 v61, 20, v61
	v_mul_lo_u16_e32 v62, 17, v61
	v_sub_u16_e32 v60, v60, v62
	v_lshlrev_b32_e32 v60, 2, v60
	global_load_dword v62, v60, s[12:13]
	s_movk_i32 s6, 0x88
	v_mad_u32_u24 v48, v48, s6, 0
	v_mad_u32_u24 v40, v40, s6, 0
	;; [unrolled: 1-line block ×3, first 2 shown]
	v_add3_u32 v38, v48, v38, v25
	v_add3_u32 v40, v40, v41, v25
	;; [unrolled: 1-line block ×3, first 2 shown]
	v_mad_u32_u24 v58, v58, s6, 0
	v_mad_u32_u24 v56, v56, s6, 0
	;; [unrolled: 1-line block ×4, first 2 shown]
	v_add3_u32 v54, v58, v54, v25
	v_add3_u32 v45, v56, v45, v25
	;; [unrolled: 1-line block ×4, first 2 shown]
	s_waitcnt vmcnt(0) lgkmcnt(0)
	s_barrier
	v_mul_f16_sdwa v41, v31, v42 dst_sel:DWORD dst_unused:UNUSED_PAD src0_sel:DWORD src1_sel:WORD_1
	v_mul_f16_sdwa v47, v30, v42 dst_sel:DWORD dst_unused:UNUSED_PAD src0_sel:DWORD src1_sel:WORD_1
	v_fma_f16 v30, v30, v42, -v41
	v_fma_f16 v31, v31, v42, v47
	v_sub_f16_e32 v30, v43, v30
	v_sub_f16_e32 v31, v39, v31
	v_pk_mul_f16 v48, v44, v24 op_sel:[0,1]
	v_pk_fma_f16 v41, v44, v24, v48 op_sel:[0,0,1] op_sel_hi:[1,1,0] neg_lo:[0,0,1] neg_hi:[0,0,1]
	v_pk_fma_f16 v24, v44, v24, v48 op_sel:[0,0,1] op_sel_hi:[1,0,0]
	v_bfi_b32 v24, s8, v41, v24
	v_pk_mul_f16 v41, v49, v23 op_sel:[0,1]
	v_pk_fma_f16 v42, v49, v23, v41 op_sel:[0,0,1] op_sel_hi:[1,1,0] neg_lo:[0,0,1] neg_hi:[0,0,1]
	v_pk_fma_f16 v23, v49, v23, v41 op_sel:[0,0,1] op_sel_hi:[1,0,0]
	v_pk_mul_f16 v41, v51, v20 op_sel:[0,1]
	v_bfi_b32 v23, s8, v42, v23
	v_pk_fma_f16 v42, v51, v20, v41 op_sel:[0,0,1] op_sel_hi:[1,1,0] neg_lo:[0,0,1] neg_hi:[0,0,1]
	v_pk_fma_f16 v20, v51, v20, v41 op_sel:[0,0,1] op_sel_hi:[1,0,0]
	v_pk_mul_f16 v41, v53, v19 op_sel:[0,1]
	v_bfi_b32 v20, s8, v42, v20
	;; [unrolled: 4-line block ×5, first 2 shown]
	v_pk_fma_f16 v42, v59, v12, v41 op_sel:[0,0,1] op_sel_hi:[1,1,0] neg_lo:[0,0,1] neg_hi:[0,0,1]
	v_pk_fma_f16 v12, v59, v12, v41 op_sel:[0,0,1] op_sel_hi:[1,0,0]
	v_bfi_b32 v12, s8, v42, v12
	v_pk_add_f16 v15, v13, v15 neg_lo:[0,1] neg_hi:[0,1]
	v_pk_add_f16 v12, v33, v12 neg_lo:[0,1] neg_hi:[0,1]
	;; [unrolled: 1-line block ×7, first 2 shown]
	v_pk_fma_f16 v13, v13, 2.0, v15 op_sel_hi:[1,0,1] neg_lo:[0,0,1] neg_hi:[0,0,1]
	v_pk_fma_f16 v33, v33, 2.0, v12 op_sel_hi:[1,0,1] neg_lo:[0,0,1] neg_hi:[0,0,1]
	;; [unrolled: 1-line block ×7, first 2 shown]
	ds_write2_b32 v54, v33, v12 offset1:17
	ds_write2_b32 v45, v13, v15 offset1:17
	ds_write2_b32 v46, v14, v16 offset1:17
	ds_write2_b32 v36, v17, v19 offset1:17
	ds_write2_b32 v37, v18, v20 offset1:17
	ds_write2_b32 v38, v21, v23 offset1:17
	ds_write2_b32 v40, v22, v24 offset1:17
	v_pk_mul_f16 v13, v32, v62 op_sel:[0,1]
	v_pk_fma_f16 v14, v32, v62, v13 op_sel:[0,0,1] op_sel_hi:[1,1,0] neg_lo:[0,0,1] neg_hi:[0,0,1]
	v_pk_fma_f16 v13, v32, v62, v13 op_sel:[0,0,1] op_sel_hi:[1,0,0]
	v_bfi_b32 v13, s8, v14, v13
	v_mad_u32_u24 v12, v61, s6, 0
	v_pk_add_f16 v13, v11, v13 neg_lo:[0,1] neg_hi:[0,1]
	v_add3_u32 v12, v12, v60, v25
	v_pk_fma_f16 v11, v11, 2.0, v13 op_sel_hi:[1,0,1] neg_lo:[0,0,1] neg_hi:[0,0,1]
	ds_write2_b32 v12, v11, v13 offset1:17
	s_and_saveexec_b64 s[6:7], s[2:3]
	s_cbranch_execz .LBB0_24
; %bb.23:
	v_mul_lo_u16_e32 v13, 34, v34
	v_fma_f16 v11, v43, 2.0, -v30
	v_fma_f16 v12, v39, 2.0, -v31
	v_lshl_add_u32 v14, v35, 2, 0
	v_lshlrev_b32_e32 v13, 2, v13
	s_mov_b32 s8, 0x5040100
	v_add3_u32 v13, v14, v13, v25
	v_pack_b32_f16 v11, v11, v12
	v_perm_b32 v12, v31, v30, s8
	ds_write2_b32 v13, v11, v12 offset1:17
.LBB0_24:
	s_or_b64 exec, exec, s[6:7]
	v_subrev_u32_e32 v11, 34, v3
	v_cndmask_b32_e64 v12, v11, v3, s[2:3]
	v_lshlrev_b32_e32 v13, 4, v12
	v_mov_b32_e32 v14, 0
	v_lshlrev_b64 v[13:14], 2, v[13:14]
	v_mov_b32_e32 v15, s13
	v_add_co_u32_e32 v13, vcc, s12, v13
	v_addc_co_u32_e32 v14, vcc, v15, v14, vcc
	s_waitcnt lgkmcnt(0)
	s_barrier
	global_load_dwordx4 v[16:19], v[13:14], off offset:68
	global_load_dwordx4 v[35:38], v[13:14], off offset:84
	;; [unrolled: 1-line block ×4, first 2 shown]
	ds_read2_b32 v[21:22], v4 offset0:68 offset1:136
	v_add_u32_e32 v14, 0x200, v4
	v_add_u32_e32 v51, 0xa00, v4
	;; [unrolled: 1-line block ×3, first 2 shown]
	ds_read_b32 v57, v27
	v_add_u32_e32 v32, 0x400, v4
	v_add_u32_e32 v13, 0x600, v4
	;; [unrolled: 1-line block ×4, first 2 shown]
	ds_read2_b32 v[23:24], v14 offset0:76 offset1:144
	ds_read2_b32 v[33:34], v32 offset0:84 offset1:152
	;; [unrolled: 1-line block ×7, first 2 shown]
	s_waitcnt lgkmcnt(8)
	v_lshrrev_b32_e32 v58, 16, v21
	s_waitcnt lgkmcnt(6)
	v_lshrrev_b32_e32 v60, 16, v24
	s_waitcnt lgkmcnt(4)
	v_lshrrev_b32_e32 v63, 16, v47
	s_waitcnt lgkmcnt(2)
	v_lshrrev_b32_e32 v67, 16, v51
	v_lshrrev_b32_e32 v73, 16, v23
	v_lshrrev_b32_e32 v64, 16, v48
	;; [unrolled: 1-line block ×8, first 2 shown]
	s_waitcnt lgkmcnt(1)
	v_lshrrev_b32_e32 v69, 16, v53
	v_lshrrev_b32_e32 v70, 16, v54
	s_waitcnt lgkmcnt(0)
	v_lshrrev_b32_e32 v71, 16, v55
	v_lshrrev_b32_e32 v72, 16, v56
	s_movk_i32 s14, 0x3b76
	s_movk_i32 s8, 0x39e9
	;; [unrolled: 1-line block ×4, first 2 shown]
	s_mov_b32 s9, 0xb461
	s_mov_b32 s15, 0xb8d2
	;; [unrolled: 1-line block ×4, first 2 shown]
	v_cmp_lt_u32_e32 vcc, 33, v3
	v_lshlrev_b32_e32 v12, 2, v12
	s_waitcnt vmcnt(0)
	s_barrier
	v_mul_f16_sdwa v74, v16, v58 dst_sel:DWORD dst_unused:UNUSED_PAD src0_sel:WORD_1 src1_sel:DWORD
	v_mul_f16_sdwa v75, v16, v21 dst_sel:DWORD dst_unused:UNUSED_PAD src0_sel:WORD_1 src1_sel:DWORD
	;; [unrolled: 1-line block ×3, first 2 shown]
	v_mul_f16_sdwa v80, v60, v19 dst_sel:DWORD dst_unused:UNUSED_PAD src0_sel:DWORD src1_sel:WORD_1
	v_mul_f16_sdwa v86, v63, v37 dst_sel:DWORD dst_unused:UNUSED_PAD src0_sel:DWORD src1_sel:WORD_1
	;; [unrolled: 1-line block ×3, first 2 shown]
	v_fma_f16 v74, v16, v21, -v74
	v_fma_f16 v58, v16, v58, v75
	v_mul_f16_sdwa v16, v67, v41 dst_sel:DWORD dst_unused:UNUSED_PAD src0_sel:DWORD src1_sel:WORD_1
	v_mul_f16_sdwa v79, v18, v23 dst_sel:DWORD dst_unused:UNUSED_PAD src0_sel:WORD_1 src1_sel:DWORD
	v_mul_f16_sdwa v81, v24, v19 dst_sel:DWORD dst_unused:UNUSED_PAD src0_sel:DWORD src1_sel:WORD_1
	v_mul_f16_sdwa v88, v64, v38 dst_sel:DWORD dst_unused:UNUSED_PAD src0_sel:DWORD src1_sel:WORD_1
	v_mul_f16_sdwa v89, v48, v38 dst_sel:DWORD dst_unused:UNUSED_PAD src0_sel:DWORD src1_sel:WORD_1
	v_fma_f16 v78, v18, v23, -v78
	v_fma_f16 v80, v24, v19, -v80
	;; [unrolled: 1-line block ×3, first 2 shown]
	v_fma_f16 v24, v63, v37, v87
	v_fma_f16 v37, v51, v41, -v16
	v_mul_f16_sdwa v16, v51, v41 dst_sel:DWORD dst_unused:UNUSED_PAD src0_sel:DWORD src1_sel:WORD_1
	v_mul_f16_sdwa v76, v17, v59 dst_sel:DWORD dst_unused:UNUSED_PAD src0_sel:WORD_1 src1_sel:DWORD
	v_mul_f16_sdwa v90, v65, v39 dst_sel:DWORD dst_unused:UNUSED_PAD src0_sel:DWORD src1_sel:WORD_1
	v_mul_f16_sdwa v91, v49, v39 dst_sel:DWORD dst_unused:UNUSED_PAD src0_sel:DWORD src1_sel:WORD_1
	v_fma_f16 v73, v18, v73, v79
	v_fma_f16 v60, v60, v19, v81
	v_fma_f16 v18, v48, v38, -v88
	v_fma_f16 v19, v64, v38, v89
	v_fma_f16 v38, v67, v41, v16
	v_mul_f16_sdwa v16, v68, v42 dst_sel:DWORD dst_unused:UNUSED_PAD src0_sel:DWORD src1_sel:WORD_1
	v_mul_f16_sdwa v77, v17, v22 dst_sel:DWORD dst_unused:UNUSED_PAD src0_sel:WORD_1 src1_sel:DWORD
	v_mul_f16_sdwa v82, v61, v35 dst_sel:DWORD dst_unused:UNUSED_PAD src0_sel:DWORD src1_sel:WORD_1
	v_mul_f16_sdwa v83, v33, v35 dst_sel:DWORD dst_unused:UNUSED_PAD src0_sel:DWORD src1_sel:WORD_1
	;; [unrolled: 1-line block ×5, first 2 shown]
	v_fma_f16 v76, v17, v22, -v76
	v_fma_f16 v21, v49, v39, -v90
	v_fma_f16 v22, v65, v39, v91
	v_fma_f16 v39, v52, v42, -v16
	v_mul_f16_sdwa v16, v52, v42 dst_sel:DWORD dst_unused:UNUSED_PAD src0_sel:DWORD src1_sel:WORD_1
	v_mul_f16_sdwa v85, v34, v36 dst_sel:DWORD dst_unused:UNUSED_PAD src0_sel:DWORD src1_sel:WORD_1
	v_fma_f16 v75, v33, v35, -v82
	v_fma_f16 v61, v61, v35, v83
	v_fma_f16 v35, v34, v36, -v84
	v_fma_f16 v33, v50, v40, -v92
	v_fma_f16 v34, v66, v40, v93
	v_fma_f16 v40, v68, v42, v16
	v_mul_f16_sdwa v16, v69, v43 dst_sel:DWORD dst_unused:UNUSED_PAD src0_sel:DWORD src1_sel:WORD_1
	v_fma_f16 v41, v53, v43, -v16
	v_mul_f16_sdwa v16, v53, v43 dst_sel:DWORD dst_unused:UNUSED_PAD src0_sel:DWORD src1_sel:WORD_1
	v_fma_f16 v42, v69, v43, v16
	v_mul_f16_sdwa v16, v70, v44 dst_sel:DWORD dst_unused:UNUSED_PAD src0_sel:DWORD src1_sel:WORD_1
	v_fma_f16 v43, v54, v44, -v16
	v_mul_f16_sdwa v16, v54, v44 dst_sel:DWORD dst_unused:UNUSED_PAD src0_sel:DWORD src1_sel:WORD_1
	;; [unrolled: 4-line block ×3, first 2 shown]
	v_fma_f16 v45, v71, v45, v16
	v_mul_f16_sdwa v16, v72, v46 dst_sel:DWORD dst_unused:UNUSED_PAD src0_sel:DWORD src1_sel:WORD_1
	v_fma_f16 v59, v17, v59, v77
	v_fma_f16 v48, v56, v46, -v16
	v_mul_f16_sdwa v16, v56, v46 dst_sel:DWORD dst_unused:UNUSED_PAD src0_sel:DWORD src1_sel:WORD_1
	v_add_f16_sdwa v17, v58, v57 dst_sel:DWORD dst_unused:UNUSED_PAD src0_sel:DWORD src1_sel:WORD_1
	v_fma_f16 v46, v72, v46, v16
	v_add_f16_e32 v16, v74, v57
	v_add_f16_e32 v17, v17, v59
	;; [unrolled: 1-line block ×6, first 2 shown]
	v_fma_f16 v36, v62, v36, v85
	v_add_f16_e32 v16, v16, v80
	v_add_f16_e32 v17, v17, v61
	;; [unrolled: 1-line block ×25, first 2 shown]
	v_sub_f16_e32 v46, v58, v46
	v_add_f16_e32 v16, v16, v48
	v_add_f16_e32 v49, v74, v48
	v_sub_f16_e32 v48, v74, v48
	v_mul_f16_e32 v51, 0xb5c8, v46
	v_mul_f16_e32 v55, 0xb964, v46
	;; [unrolled: 1-line block ×8, first 2 shown]
	v_fma_f16 v52, v49, s14, -v51
	v_mul_f16_e32 v53, 0xb5c8, v48
	v_fma_f16 v51, v49, s14, v51
	v_fma_f16 v56, v49, s8, -v55
	v_mul_f16_e32 v58, 0xb964, v48
	v_fma_f16 v55, v49, s8, v55
	v_fma_f16 v64, v49, s7, -v63
	v_mul_f16_e32 v65, 0xbb29, v48
	v_fma_f16 v63, v49, s7, v63
	v_fma_f16 v68, v49, s6, -v67
	v_mul_f16_e32 v69, 0xbbf7, v48
	v_fma_f16 v67, v49, s6, v67
	v_fma_f16 v72, v49, s9, -v71
	v_mul_f16_e32 v74, 0xbbb2, v48
	v_fma_f16 v71, v49, s9, v71
	v_fma_f16 v81, v49, s15, -v79
	v_fma_f16 v79, v49, s15, v79
	v_fma_f16 v83, v49, s16, -v82
	v_fma_f16 v82, v49, s16, v82
	;; [unrolled: 2-line block ×3, first 2 shown]
	v_mul_f16_e32 v49, 0xba62, v48
	v_mul_f16_e32 v86, 0xb836, v48
	;; [unrolled: 1-line block ×3, first 2 shown]
	v_fma_f16 v54, v50, s14, v53
	v_fma_f16 v53, v50, s14, -v53
	v_fma_f16 v62, v50, s8, v58
	v_fma_f16 v58, v50, s8, -v58
	;; [unrolled: 2-line block ×8, first 2 shown]
	v_add_f16_e32 v50, v52, v57
	v_add_f16_sdwa v52, v54, v57 dst_sel:DWORD dst_unused:UNUSED_PAD src0_sel:DWORD src1_sel:WORD_1
	v_add_f16_e32 v51, v51, v57
	v_add_f16_sdwa v53, v53, v57 dst_sel:DWORD dst_unused:UNUSED_PAD src0_sel:DWORD src1_sel:WORD_1
	;; [unrolled: 2-line block ×16, first 2 shown]
	v_add_f16_e32 v57, v76, v47
	v_sub_f16_e32 v47, v76, v47
	v_add_f16_e32 v76, v59, v45
	v_sub_f16_e32 v45, v59, v45
	v_mul_f16_e32 v59, 0xb964, v45
	v_fma_f16 v88, v57, s8, -v59
	v_add_f16_e32 v50, v88, v50
	v_mul_f16_e32 v88, 0xb964, v47
	v_fma_f16 v59, v57, s8, v59
	v_add_f16_e32 v51, v59, v51
	v_fma_f16 v59, v76, s8, -v88
	v_add_f16_e32 v53, v59, v53
	v_mul_f16_e32 v59, 0xbbf7, v45
	v_fma_f16 v89, v76, s8, v88
	v_fma_f16 v88, v57, s6, -v59
	v_add_f16_e32 v54, v88, v54
	v_mul_f16_e32 v88, 0xbbf7, v47
	v_fma_f16 v59, v57, s6, v59
	v_add_f16_e32 v55, v59, v55
	v_fma_f16 v59, v76, s6, -v88
	v_add_f16_e32 v58, v59, v58
	v_mul_f16_e32 v59, 0xba62, v45
	v_add_f16_e32 v52, v89, v52
	v_fma_f16 v89, v76, s6, v88
	v_fma_f16 v88, v57, s15, -v59
	v_add_f16_e32 v62, v88, v62
	v_mul_f16_e32 v88, 0xba62, v47
	v_fma_f16 v59, v57, s15, v59
	v_add_f16_e32 v59, v59, v63
	v_fma_f16 v63, v76, s15, -v88
	v_add_f16_e32 v63, v63, v65
	v_mul_f16_e32 v65, 0xb1e1, v45
	v_add_f16_e32 v56, v89, v56
	;; [unrolled: 10-line block ×5, first 2 shown]
	v_fma_f16 v89, v76, s9, v88
	v_fma_f16 v88, v57, s7, -v79
	v_add_f16_e32 v83, v88, v83
	v_mul_f16_e32 v88, 0x3b29, v47
	v_fma_f16 v79, v57, s7, v79
	v_add_f16_e32 v79, v79, v82
	v_fma_f16 v82, v76, s7, -v88
	v_mul_f16_e32 v45, 0x35c8, v45
	v_add_f16_e32 v82, v82, v86
	v_fma_f16 v86, v57, s14, -v45
	v_mul_f16_e32 v47, 0x35c8, v47
	v_fma_f16 v45, v57, s14, v45
	v_add_f16_e32 v45, v45, v46
	v_fma_f16 v46, v76, s14, -v47
	v_add_f16_e32 v46, v46, v48
	v_add_f16_e32 v48, v73, v44
	v_sub_f16_e32 v44, v73, v44
	v_add_f16_e32 v84, v86, v84
	v_fma_f16 v86, v76, s14, v47
	v_add_f16_e32 v47, v78, v43
	v_mul_f16_e32 v57, 0xbb29, v44
	v_sub_f16_e32 v43, v78, v43
	v_fma_f16 v73, v47, s7, -v57
	v_add_f16_e32 v50, v73, v50
	v_mul_f16_e32 v73, 0xbb29, v43
	v_fma_f16 v57, v47, s7, v57
	v_add_f16_e32 v51, v57, v51
	v_fma_f16 v57, v48, s7, -v73
	v_add_f16_e32 v53, v57, v53
	v_mul_f16_e32 v57, 0xba62, v44
	v_add_f16_e32 v81, v89, v81
	v_fma_f16 v89, v76, s7, v88
	v_fma_f16 v76, v48, s7, v73
	v_fma_f16 v73, v47, s15, -v57
	v_add_f16_e32 v54, v73, v54
	v_mul_f16_e32 v73, 0xba62, v43
	v_fma_f16 v57, v47, s15, v57
	v_add_f16_e32 v55, v57, v55
	v_fma_f16 v57, v48, s15, -v73
	v_add_f16_e32 v57, v57, v58
	v_mul_f16_e32 v58, 0x31e1, v44
	v_add_f16_e32 v52, v76, v52
	v_fma_f16 v76, v48, s15, v73
	v_fma_f16 v73, v47, s17, -v58
	v_add_f16_e32 v62, v73, v62
	v_mul_f16_e32 v73, 0x31e1, v43
	v_fma_f16 v58, v47, s17, v58
	v_add_f16_e32 v58, v58, v59
	v_fma_f16 v59, v48, s17, -v73
	v_add_f16_e32 v59, v59, v63
	v_mul_f16_e32 v63, 0x3bb2, v44
	v_add_f16_e32 v56, v76, v56
	;; [unrolled: 10-line block ×3, first 2 shown]
	v_fma_f16 v76, v48, s9, v73
	v_fma_f16 v73, v47, s8, -v67
	v_add_f16_e32 v70, v73, v70
	v_mul_f16_e32 v73, 0x3964, v43
	v_fma_f16 v67, v47, s8, v67
	v_add_f16_e32 v67, v67, v69
	v_fma_f16 v69, v48, s8, -v73
	v_add_f16_e32 v68, v76, v68
	v_fma_f16 v76, v48, s8, v73
	v_add_f16_e32 v69, v69, v71
	v_mul_f16_e32 v71, 0xb5c8, v44
	v_add_f16_e32 v72, v76, v72
	v_fma_f16 v73, v47, s14, -v71
	v_mul_f16_e32 v76, 0xb5c8, v43
	v_fma_f16 v71, v47, s14, v71
	v_add_f16_e32 v73, v73, v77
	v_fma_f16 v77, v48, s14, v76
	v_add_f16_e32 v71, v71, v74
	v_fma_f16 v74, v48, s14, -v76
	v_mul_f16_e32 v78, 0xbbf7, v43
	v_add_f16_e32 v77, v77, v81
	v_add_f16_e32 v49, v74, v49
	v_mul_f16_e32 v74, 0xbbf7, v44
	v_fma_f16 v81, v48, s6, v78
	v_fma_f16 v78, v48, s6, -v78
	v_mul_f16_e32 v43, 0xb836, v43
	v_fma_f16 v76, v47, s6, -v74
	v_fma_f16 v74, v47, s6, v74
	v_add_f16_e32 v78, v78, v82
	v_mul_f16_e32 v44, 0xb836, v44
	v_fma_f16 v82, v48, s16, v43
	v_fma_f16 v43, v48, s16, -v43
	v_add_f16_e32 v74, v74, v79
	v_fma_f16 v79, v47, s16, -v44
	v_fma_f16 v44, v47, s16, v44
	v_add_f16_e32 v43, v43, v46
	v_add_f16_e32 v46, v60, v42
	v_sub_f16_e32 v42, v60, v42
	v_add_f16_e32 v44, v44, v45
	v_add_f16_e32 v45, v80, v41
	v_mul_f16_e32 v47, 0xbbf7, v42
	v_sub_f16_e32 v41, v80, v41
	v_fma_f16 v48, v45, s6, -v47
	v_add_f16_e32 v48, v48, v50
	v_mul_f16_e32 v50, 0xbbf7, v41
	v_fma_f16 v47, v45, s6, v47
	v_fma_f16 v60, v46, s6, v50
	v_add_f16_e32 v47, v47, v51
	v_fma_f16 v50, v46, s6, -v50
	v_mul_f16_e32 v51, 0xb1e1, v42
	v_add_f16_e32 v50, v50, v53
	v_fma_f16 v53, v45, s17, -v51
	v_add_f16_e32 v53, v53, v54
	v_mul_f16_e32 v54, 0xb1e1, v41
	v_fma_f16 v51, v45, s17, v51
	v_add_f16_e32 v52, v60, v52
	v_fma_f16 v60, v46, s17, v54
	v_add_f16_e32 v51, v51, v55
	v_fma_f16 v54, v46, s17, -v54
	v_mul_f16_e32 v55, 0x3bb2, v42
	v_add_f16_e32 v56, v60, v56
	v_add_f16_e32 v54, v54, v57
	v_fma_f16 v57, v45, s9, -v55
	v_mul_f16_e32 v60, 0x3bb2, v41
	v_fma_f16 v55, v45, s9, v55
	v_add_f16_e32 v55, v55, v58
	v_fma_f16 v58, v46, s9, -v60
	v_add_f16_e32 v57, v57, v62
	v_fma_f16 v62, v46, s9, v60
	v_add_f16_e32 v58, v58, v59
	v_mul_f16_e32 v59, 0x35c8, v42
	v_add_f16_e32 v62, v62, v64
	v_fma_f16 v60, v45, s14, -v59
	v_mul_f16_e32 v64, 0x35c8, v41
	v_fma_f16 v59, v45, s14, v59
	v_add_f16_e32 v60, v60, v66
	v_fma_f16 v66, v46, s14, v64
	v_add_f16_e32 v59, v59, v63
	v_fma_f16 v63, v46, s14, -v64
	v_mul_f16_e32 v64, 0xbb29, v42
	v_add_f16_e32 v66, v66, v68
	v_add_f16_e32 v63, v63, v65
	v_fma_f16 v65, v45, s7, -v64
	v_mul_f16_e32 v68, 0xbb29, v41
	v_fma_f16 v64, v45, s7, v64
	v_add_f16_e32 v65, v65, v70
	v_fma_f16 v70, v46, s7, v68
	v_add_f16_e32 v64, v64, v67
	v_fma_f16 v67, v46, s7, -v68
	v_mul_f16_e32 v68, 0xb836, v42
	v_add_f16_e32 v70, v70, v72
	v_add_f16_e32 v67, v67, v69
	v_fma_f16 v69, v45, s16, -v68
	v_mul_f16_e32 v72, 0xb836, v41
	v_fma_f16 v68, v45, s16, v68
	v_add_f16_e32 v68, v68, v71
	v_fma_f16 v71, v46, s16, -v72
	v_add_f16_e32 v49, v71, v49
	v_mul_f16_e32 v71, 0x3a62, v42
	v_add_f16_e32 v76, v76, v83
	v_add_f16_e32 v69, v69, v73
	v_fma_f16 v73, v46, s16, v72
	v_fma_f16 v72, v45, s15, -v71
	v_add_f16_e32 v72, v72, v76
	v_mul_f16_e32 v76, 0x3a62, v41
	v_fma_f16 v71, v45, s15, v71
	v_mul_f16_e32 v42, 0x3964, v42
	v_add_f16_e32 v73, v73, v77
	v_fma_f16 v77, v46, s15, v76
	v_add_f16_e32 v71, v71, v74
	v_fma_f16 v74, v46, s15, -v76
	v_fma_f16 v76, v45, s8, -v42
	v_mul_f16_e32 v41, 0x3964, v41
	v_fma_f16 v42, v45, s8, v42
	v_add_f16_e32 v74, v74, v78
	v_fma_f16 v78, v46, s8, v41
	v_add_f16_e32 v42, v42, v44
	v_fma_f16 v41, v46, s8, -v41
	v_add_f16_e32 v44, v61, v40
	v_sub_f16_e32 v40, v61, v40
	v_add_f16_e32 v41, v41, v43
	v_add_f16_e32 v43, v75, v39
	v_mul_f16_e32 v45, 0xbbb2, v40
	v_sub_f16_e32 v39, v75, v39
	v_fma_f16 v46, v43, s9, -v45
	v_add_f16_e32 v46, v46, v48
	v_mul_f16_e32 v48, 0xbbb2, v39
	v_fma_f16 v45, v43, s9, v45
	v_fma_f16 v61, v44, s9, v48
	v_add_f16_e32 v45, v45, v47
	v_fma_f16 v47, v44, s9, -v48
	v_mul_f16_e32 v48, 0x3836, v40
	v_add_f16_e32 v47, v47, v50
	v_fma_f16 v50, v43, s16, -v48
	v_add_f16_e32 v50, v50, v53
	v_mul_f16_e32 v53, 0x3836, v39
	v_fma_f16 v48, v43, s16, v48
	v_add_f16_e32 v52, v61, v52
	v_fma_f16 v61, v44, s16, v53
	v_add_f16_e32 v48, v48, v51
	v_fma_f16 v51, v44, s16, -v53
	v_mul_f16_e32 v53, 0x3964, v40
	v_add_f16_e32 v51, v51, v54
	v_fma_f16 v54, v43, s8, -v53
	v_add_f16_e32 v54, v54, v57
	v_mul_f16_e32 v57, 0x3964, v39
	v_fma_f16 v53, v43, s8, v53
	v_add_f16_e32 v56, v61, v56
	;; [unrolled: 10-line block ×5, first 2 shown]
	v_fma_f16 v68, v44, s6, -v69
	v_add_f16_e32 v49, v68, v49
	v_mul_f16_e32 v68, 0xb5c8, v40
	v_add_f16_e32 v66, v66, v70
	v_fma_f16 v70, v44, s6, v69
	v_fma_f16 v69, v43, s14, -v68
	v_add_f16_e32 v69, v69, v72
	v_mul_f16_e32 v72, 0xb5c8, v39
	v_fma_f16 v68, v43, s14, v68
	v_mul_f16_e32 v40, 0xba62, v40
	v_add_f16_e32 v70, v70, v73
	v_fma_f16 v73, v44, s14, v72
	v_add_f16_e32 v68, v68, v71
	v_fma_f16 v71, v44, s14, -v72
	v_fma_f16 v72, v43, s15, -v40
	v_mul_f16_e32 v39, 0xba62, v39
	v_fma_f16 v40, v43, s15, v40
	v_add_f16_e32 v71, v71, v74
	v_fma_f16 v74, v44, s15, v39
	v_add_f16_e32 v40, v40, v42
	v_fma_f16 v39, v44, s15, -v39
	v_add_f16_e32 v42, v36, v38
	v_sub_f16_e32 v36, v36, v38
	v_add_f16_e32 v39, v39, v41
	v_add_f16_e32 v41, v35, v37
	v_sub_f16_e32 v35, v35, v37
	v_mul_f16_e32 v37, 0xba62, v36
	v_fma_f16 v38, v41, s15, -v37
	v_mul_f16_e32 v43, 0xba62, v35
	v_fma_f16 v37, v41, s15, v37
	v_fma_f16 v44, v42, s15, v43
	v_add_f16_e32 v37, v37, v45
	v_fma_f16 v43, v42, s15, -v43
	v_mul_f16_e32 v45, 0x3bb2, v36
	v_add_f16_e32 v38, v38, v46
	v_add_f16_e32 v43, v43, v47
	v_fma_f16 v46, v41, s9, -v45
	v_mul_f16_e32 v47, 0x3bb2, v35
	v_fma_f16 v45, v41, s9, v45
	v_add_f16_e32 v46, v46, v50
	v_fma_f16 v50, v42, s9, v47
	v_add_f16_e32 v45, v45, v48
	v_fma_f16 v47, v42, s9, -v47
	v_mul_f16_e32 v48, 0xb5c8, v36
	v_add_f16_e32 v44, v44, v52
	v_add_f16_e32 v47, v47, v51
	v_fma_f16 v51, v41, s14, -v48
	v_mul_f16_e32 v52, 0xb5c8, v35
	v_fma_f16 v48, v41, s14, v48
	v_add_f16_e32 v51, v51, v54
	;; [unrolled: 10-line block ×4, first 2 shown]
	v_fma_f16 v60, v42, s6, -v61
	v_add_f16_e32 v58, v58, v62
	v_fma_f16 v62, v42, s6, v61
	v_add_f16_e32 v60, v60, v64
	v_mul_f16_e32 v64, 0xb964, v35
	v_add_f16_e32 v62, v62, v66
	v_mul_f16_e32 v61, 0xb964, v36
	v_fma_f16 v66, v42, s8, v64
	v_fma_f16 v64, v42, s8, -v64
	v_add_f16_e32 v59, v59, v63
	v_fma_f16 v63, v41, s8, -v61
	v_fma_f16 v61, v41, s8, v61
	v_add_f16_e32 v49, v64, v49
	v_mul_f16_e32 v64, 0xb1e1, v36
	v_add_f16_e32 v61, v61, v65
	v_fma_f16 v65, v41, s17, -v64
	v_fma_f16 v64, v41, s17, v64
	v_mul_f16_e32 v36, 0x3b29, v36
	v_add_f16_e32 v63, v63, v67
	v_mul_f16_e32 v67, 0xb1e1, v35
	v_add_f16_e32 v64, v64, v68
	v_fma_f16 v68, v41, s7, -v36
	v_mul_f16_e32 v35, 0x3b29, v35
	v_fma_f16 v36, v41, s7, v36
	v_add_f16_e32 v66, v66, v70
	v_fma_f16 v70, v42, s7, v35
	v_add_f16_e32 v36, v36, v40
	v_fma_f16 v35, v42, s7, -v35
	v_add_f16_e32 v40, v24, v34
	v_sub_f16_e32 v24, v24, v34
	v_add_f16_e32 v35, v35, v39
	v_add_f16_e32 v39, v23, v33
	v_sub_f16_e32 v23, v23, v33
	v_mul_f16_e32 v33, 0xb836, v24
	v_fma_f16 v34, v39, s16, -v33
	v_add_f16_e32 v34, v34, v38
	v_mul_f16_e32 v38, 0xb836, v23
	v_fma_f16 v33, v39, s16, v33
	v_add_f16_e32 v33, v33, v37
	v_fma_f16 v37, v40, s16, -v38
	v_fma_f16 v41, v40, s16, v38
	v_add_f16_e32 v37, v37, v43
	v_mul_f16_e32 v43, 0x3b29, v23
	v_add_f16_e32 v41, v41, v44
	v_mul_f16_e32 v38, 0x3b29, v24
	v_fma_f16 v44, v40, s7, v43
	v_fma_f16 v43, v40, s7, -v43
	v_add_f16_e32 v65, v65, v69
	v_fma_f16 v69, v42, s17, v67
	v_fma_f16 v67, v42, s17, -v67
	v_fma_f16 v42, v39, s7, -v38
	v_fma_f16 v38, v39, s7, v38
	v_add_f16_e32 v43, v43, v47
	v_mul_f16_e32 v47, 0xbbf7, v23
	v_add_f16_e32 v44, v44, v50
	v_add_f16_e32 v38, v38, v45
	v_mul_f16_e32 v45, 0xbbf7, v24
	v_fma_f16 v50, v40, s6, v47
	v_fma_f16 v47, v40, s6, -v47
	v_add_f16_e32 v42, v42, v46
	v_fma_f16 v46, v39, s6, -v45
	v_fma_f16 v45, v39, s6, v45
	v_add_f16_e32 v47, v47, v52
	v_mul_f16_e32 v52, 0x3a62, v23
	v_add_f16_e32 v50, v50, v54
	v_add_f16_e32 v45, v45, v48
	v_mul_f16_e32 v48, 0x3a62, v24
	v_fma_f16 v54, v40, s15, v52
	v_fma_f16 v52, v40, s15, -v52
	v_add_f16_e32 v46, v46, v51
	;; [unrolled: 10-line block ×4, first 2 shown]
	v_fma_f16 v59, v39, s17, -v57
	v_fma_f16 v57, v39, s17, v57
	v_add_f16_e32 v49, v60, v49
	v_mul_f16_e32 v60, 0x3964, v24
	v_add_f16_e32 v57, v57, v61
	v_fma_f16 v61, v39, s8, -v60
	v_fma_f16 v60, v39, s8, v60
	v_mul_f16_e32 v24, 0xbbb2, v24
	v_add_f16_e32 v59, v59, v63
	v_mul_f16_e32 v63, 0x3964, v23
	v_add_f16_e32 v60, v60, v64
	v_fma_f16 v64, v39, s9, -v24
	v_mul_f16_e32 v23, 0xbbb2, v23
	v_fma_f16 v24, v39, s9, v24
	v_add_f16_e32 v62, v62, v66
	v_fma_f16 v66, v40, s9, v23
	v_add_f16_e32 v24, v24, v36
	v_fma_f16 v23, v40, s9, -v23
	v_add_f16_e32 v36, v19, v22
	v_sub_f16_e32 v19, v19, v22
	v_add_f16_e32 v23, v23, v35
	v_add_f16_e32 v35, v18, v21
	v_sub_f16_e32 v18, v18, v21
	v_mul_f16_e32 v21, 0xb1e1, v19
	v_fma_f16 v22, v35, s17, -v21
	v_add_f16_e32 v22, v22, v34
	v_mul_f16_e32 v34, 0xb1e1, v18
	v_fma_f16 v21, v35, s17, v21
	v_add_f16_e32 v33, v21, v33
	v_fma_f16 v21, v36, s17, -v34
	v_fma_f16 v39, v36, s17, v34
	v_add_f16_e32 v34, v21, v37
	v_mul_f16_e32 v21, 0x35c8, v19
	v_add_f16_e32 v61, v61, v65
	v_fma_f16 v65, v40, s8, v63
	v_fma_f16 v63, v40, s8, -v63
	v_fma_f16 v37, v35, s14, -v21
	v_mul_f16_e32 v40, 0x35c8, v18
	v_fma_f16 v21, v35, s14, v21
	v_add_f16_e32 v39, v39, v41
	v_fma_f16 v41, v36, s14, v40
	v_add_f16_e32 v21, v21, v38
	v_fma_f16 v38, v36, s14, -v40
	v_mul_f16_e32 v40, 0xb836, v19
	v_add_f16_e32 v37, v37, v42
	v_add_f16_e32 v38, v38, v43
	v_fma_f16 v42, v35, s16, -v40
	v_mul_f16_e32 v43, 0xb836, v18
	v_fma_f16 v40, v35, s16, v40
	v_add_f16_e32 v41, v41, v44
	v_fma_f16 v44, v36, s16, v43
	v_add_f16_e32 v40, v40, v45
	v_fma_f16 v43, v36, s16, -v43
	v_mul_f16_e32 v45, 0x3964, v19
	v_add_f16_e32 v42, v42, v46
	v_add_f16_e32 v43, v43, v47
	;; [unrolled: 10-line block ×4, first 2 shown]
	v_fma_f16 v55, v35, s7, -v53
	v_mul_f16_e32 v56, 0x3b29, v18
	v_add_f16_e32 v54, v54, v58
	v_add_f16_e32 v55, v55, v59
	v_fma_f16 v58, v36, s7, v56
	v_mul_f16_e32 v59, 0xbbb2, v18
	v_mul_f16_e32 v18, 0x3bf7, v18
	v_add_f16_e32 v85, v89, v85
	v_add_f16_e32 v58, v58, v62
	v_fma_f16 v62, v36, s6, v18
	v_fma_f16 v18, v36, s6, -v18
	v_add_f16_e32 v86, v86, v87
	v_add_f16_e32 v81, v81, v85
	;; [unrolled: 1-line block ×3, first 2 shown]
	v_mov_b32_e32 v23, 0x908
	v_add_f16_e32 v79, v79, v84
	v_add_f16_e32 v82, v82, v86
	;; [unrolled: 1-line block ×3, first 2 shown]
	v_fma_f16 v56, v36, s7, -v56
	v_cndmask_b32_e32 v23, 0, v23, vcc
	v_add_f16_e32 v76, v76, v79
	v_add_f16_e32 v78, v78, v82
	;; [unrolled: 1-line block ×3, first 2 shown]
	v_fma_f16 v53, v35, s7, v53
	v_add_f16_e32 v49, v56, v49
	v_mul_f16_e32 v56, 0xbbb2, v19
	v_add_u32_e32 v23, 0, v23
	v_add_f16_e32 v72, v72, v76
	v_add_f16_e32 v74, v74, v78
	;; [unrolled: 1-line block ×4, first 2 shown]
	v_fma_f16 v57, v35, s9, -v56
	v_add3_u32 v12, v23, v12, v25
	v_pack_b32_f16 v16, v16, v17
	v_pack_b32_f16 v17, v22, v39
	v_add_f16_e32 v68, v68, v72
	v_add_f16_e32 v70, v70, v74
	;; [unrolled: 1-line block ×4, first 2 shown]
	v_fma_f16 v61, v36, s9, v59
	v_fma_f16 v56, v35, s9, v56
	v_mul_f16_e32 v19, 0x3bf7, v19
	ds_write2_b32 v12, v16, v17 offset1:34
	v_pack_b32_f16 v16, v37, v41
	v_pack_b32_f16 v17, v42, v44
	v_add_f16_e32 v67, v67, v71
	v_add_f16_e32 v64, v64, v68
	;; [unrolled: 1-line block ×5, first 2 shown]
	v_fma_f16 v60, v35, s6, -v19
	v_fma_f16 v19, v35, s6, v19
	ds_write2_b32 v12, v16, v17 offset0:68 offset1:102
	v_pack_b32_f16 v16, v46, v50
	v_pack_b32_f16 v17, v51, v54
	v_add_f16_e32 v63, v63, v67
	v_fma_f16 v59, v36, s9, -v59
	v_add_f16_e32 v60, v60, v64
	v_add_f16_e32 v62, v62, v66
	;; [unrolled: 1-line block ×3, first 2 shown]
	ds_write2_b32 v12, v16, v17 offset0:136 offset1:170
	v_pack_b32_f16 v16, v55, v58
	v_pack_b32_f16 v17, v57, v61
	v_add_f16_e32 v59, v59, v63
	ds_write2_b32 v12, v16, v17 offset0:204 offset1:238
	v_pack_b32_f16 v16, v60, v62
	v_pack_b32_f16 v17, v19, v18
	v_add_u32_e32 v18, 0x400, v12
	ds_write2_b32 v18, v16, v17 offset0:16 offset1:50
	v_pack_b32_f16 v16, v56, v59
	v_pack_b32_f16 v17, v53, v49
	ds_write2_b32 v18, v16, v17 offset0:84 offset1:118
	v_pack_b32_f16 v16, v48, v52
	v_pack_b32_f16 v17, v45, v47
	;; [unrolled: 3-line block ×3, first 2 shown]
	ds_write2_b32 v18, v16, v17 offset0:220 offset1:254
	v_pack_b32_f16 v16, v33, v34
	ds_write_b32 v12, v16 offset:2176
	s_waitcnt lgkmcnt(0)
	s_barrier
	ds_read2_b32 v[12:13], v13 offset0:92 offset1:194
	ds_read2_b32 v[16:17], v4 offset0:68 offset1:136
	;; [unrolled: 1-line block ×7, first 2 shown]
	ds_read_b32 v27, v27
	ds_read_b32 v35, v4 offset:4216
	s_and_saveexec_b64 s[6:7], s[2:3]
	s_cbranch_execz .LBB0_26
; %bb.25:
	ds_read_b32 v33, v4 offset:2176
	ds_read_b32 v30, v4 offset:4488
	v_mov_b32_e32 v11, v29
	s_waitcnt lgkmcnt(1)
	v_lshrrev_b32_e32 v34, 16, v33
	s_waitcnt lgkmcnt(0)
	v_lshrrev_b32_e32 v31, 16, v30
.LBB0_26:
	s_or_b64 exec, exec, s[6:7]
	v_mov_b32_e32 v29, s13
	v_add_co_u32_e32 v7, vcc, s12, v7
	v_addc_co_u32_e32 v8, vcc, v29, v8, vcc
	v_add_co_u32_e32 v9, vcc, s12, v9
	v_addc_co_u32_e32 v10, vcc, v29, v10, vcc
	s_movk_i32 s6, 0x1000
	global_load_dword v29, v[7:8], off offset:2244
	global_load_dword v36, v[9:10], off offset:2516
	;; [unrolled: 1-line block ×6, first 2 shown]
	v_add_co_u32_e32 v7, vcc, s6, v9
	v_addc_co_u32_e32 v8, vcc, 0, v10, vcc
	global_load_dword v41, v[9:10], off offset:3876
	global_load_dword v42, v[7:8], off offset:52
	v_lshl_add_u32 v7, v26, 2, v28
	s_mov_b32 s6, 0xffff
	v_add_u32_e32 v8, 0x800, v7
	v_add_u32_e32 v9, 0xc00, v7
	s_waitcnt vmcnt(0) lgkmcnt(0)
	s_barrier
	v_pk_mul_f16 v10, v29, v13 op_sel:[0,1]
	v_pk_mul_f16 v26, v36, v24 op_sel:[0,1]
	;; [unrolled: 1-line block ×6, first 2 shown]
	v_pk_fma_f16 v46, v29, v13, v10 op_sel:[0,0,1] op_sel_hi:[1,1,0] neg_lo:[0,0,1] neg_hi:[0,0,1]
	v_pk_fma_f16 v10, v29, v13, v10 op_sel:[0,0,1] op_sel_hi:[1,0,0]
	v_pk_fma_f16 v13, v36, v24, v26 op_sel:[0,0,1] op_sel_hi:[1,1,0] neg_lo:[0,0,1] neg_hi:[0,0,1]
	v_pk_fma_f16 v24, v36, v24, v26 op_sel:[0,0,1] op_sel_hi:[1,0,0]
	;; [unrolled: 2-line block ×4, first 2 shown]
	v_pk_mul_f16 v37, v41, v21 op_sel:[0,1]
	v_pk_mul_f16 v38, v35, v42 op_sel:[0,1]
	v_pk_fma_f16 v29, v39, v23, v44 op_sel:[0,0,1] op_sel_hi:[1,1,0] neg_lo:[0,0,1] neg_hi:[0,0,1]
	v_pk_fma_f16 v23, v39, v23, v44 op_sel:[0,0,1] op_sel_hi:[1,0,0]
	v_pk_fma_f16 v36, v40, v20, v45 op_sel:[0,0,1] op_sel_hi:[1,1,0] neg_lo:[0,0,1] neg_hi:[0,0,1]
	v_pk_fma_f16 v20, v40, v20, v45 op_sel:[0,0,1] op_sel_hi:[1,0,0]
	v_bfi_b32 v10, s6, v46, v10
	v_bfi_b32 v13, s6, v13, v24
	;; [unrolled: 1-line block ×4, first 2 shown]
	v_pk_fma_f16 v25, v41, v21, v37 op_sel:[0,0,1] op_sel_hi:[1,1,0] neg_lo:[0,0,1] neg_hi:[0,0,1]
	v_pk_fma_f16 v21, v41, v21, v37 op_sel:[0,0,1] op_sel_hi:[1,0,0]
	v_pk_fma_f16 v26, v35, v42, v38 op_sel:[0,0,1] op_sel_hi:[1,1,0] neg_lo:[0,0,1] neg_hi:[0,0,1]
	v_pk_fma_f16 v28, v35, v42, v38 op_sel:[0,0,1] op_sel_hi:[1,0,0]
	v_bfi_b32 v23, s6, v29, v23
	v_bfi_b32 v20, s6, v36, v20
	v_pk_add_f16 v10, v27, v10 neg_lo:[0,1] neg_hi:[0,1]
	v_pk_add_f16 v13, v16, v13 neg_lo:[0,1] neg_hi:[0,1]
	v_bfi_b32 v21, s6, v25, v21
	v_bfi_b32 v25, s6, v26, v28
	v_pk_add_f16 v24, v17, v24 neg_lo:[0,1] neg_hi:[0,1]
	v_pk_add_f16 v22, v18, v22 neg_lo:[0,1] neg_hi:[0,1]
	;; [unrolled: 1-line block ×4, first 2 shown]
	v_pk_fma_f16 v26, v27, 2.0, v10 op_sel_hi:[1,0,1] neg_lo:[0,0,1] neg_hi:[0,0,1]
	v_pk_fma_f16 v16, v16, 2.0, v13 op_sel_hi:[1,0,1] neg_lo:[0,0,1] neg_hi:[0,0,1]
	v_pk_add_f16 v21, v15, v21 neg_lo:[0,1] neg_hi:[0,1]
	ds_write_b32 v4, v10 offset:2312
	ds_write2_b32 v8, v13, v24 offset0:134 offset1:202
	ds_write2_b32 v9, v22, v23 offset0:14 offset1:82
	v_pk_add_f16 v8, v12, v25 neg_lo:[0,1] neg_hi:[0,1]
	v_pk_fma_f16 v17, v17, 2.0, v24 op_sel_hi:[1,0,1] neg_lo:[0,0,1] neg_hi:[0,0,1]
	v_pk_fma_f16 v18, v18, 2.0, v22 op_sel_hi:[1,0,1] neg_lo:[0,0,1] neg_hi:[0,0,1]
	v_pk_fma_f16 v19, v19, 2.0, v23 op_sel_hi:[1,0,1] neg_lo:[0,0,1] neg_hi:[0,0,1]
	v_pk_fma_f16 v14, v14, 2.0, v20 op_sel_hi:[1,0,1] neg_lo:[0,0,1] neg_hi:[0,0,1]
	v_pk_fma_f16 v10, v15, 2.0, v21 op_sel_hi:[1,0,1] neg_lo:[0,0,1] neg_hi:[0,0,1]
	ds_write2_b32 v4, v26, v16 offset1:68
	ds_write2_b32 v4, v17, v18 offset0:136 offset1:204
	ds_write2_b32 v32, v19, v14 offset0:16 offset1:84
	;; [unrolled: 1-line block ×3, first 2 shown]
	v_pk_fma_f16 v9, v12, 2.0, v8 op_sel_hi:[1,0,1] neg_lo:[0,0,1] neg_hi:[0,0,1]
	ds_write2_b32 v32, v10, v9 offset0:152 offset1:220
	ds_write_b32 v7, v8 offset:4216
	s_and_saveexec_b64 s[6:7], s[2:3]
	s_cbranch_execz .LBB0_28
; %bb.27:
	v_mov_b32_e32 v12, 0
	v_lshlrev_b64 v[7:8], 2, v[11:12]
	v_mov_b32_e32 v9, s13
	v_add_co_u32_e32 v7, vcc, s12, v7
	v_addc_co_u32_e32 v8, vcc, v9, v8, vcc
	global_load_dword v7, v[7:8], off offset:2244
	s_waitcnt vmcnt(0)
	v_mul_f16_sdwa v8, v31, v7 dst_sel:DWORD dst_unused:UNUSED_PAD src0_sel:DWORD src1_sel:WORD_1
	v_mul_f16_sdwa v9, v30, v7 dst_sel:DWORD dst_unused:UNUSED_PAD src0_sel:DWORD src1_sel:WORD_1
	v_fma_f16 v8, v30, v7, -v8
	v_fma_f16 v7, v31, v7, v9
	v_sub_f16_e32 v8, v33, v8
	v_sub_f16_e32 v7, v34, v7
	v_fma_f16 v9, v33, 2.0, -v8
	v_fma_f16 v10, v34, 2.0, -v7
	v_pack_b32_f16 v7, v8, v7
	v_pack_b32_f16 v8, v9, v10
	ds_write_b32 v4, v8 offset:2176
	ds_write_b32 v4, v7 offset:4488
.LBB0_28:
	s_or_b64 exec, exec, s[6:7]
	s_waitcnt lgkmcnt(0)
	s_barrier
	s_and_saveexec_b64 s[2:3], s[0:1]
	s_cbranch_execz .LBB0_30
; %bb.29:
	v_mul_lo_u32 v4, s5, v5
	v_mul_lo_u32 v7, s4, v6
	v_mad_u64_u32 v[5:6], s[0:1], s4, v5, 0
	v_lshl_add_u32 v9, v3, 2, v0
	v_mov_b32_e32 v0, s11
	v_add3_u32 v6, v6, v7, v4
	v_lshlrev_b64 v[5:6], 2, v[5:6]
	v_mov_b32_e32 v4, 0
	v_add_co_u32_e32 v5, vcc, s10, v5
	v_addc_co_u32_e32 v6, vcc, v0, v6, vcc
	v_lshlrev_b64 v[0:1], 2, v[1:2]
	ds_read2_b32 v[7:8], v9 offset1:68
	v_add_co_u32_e32 v2, vcc, v5, v0
	v_addc_co_u32_e32 v10, vcc, v6, v1, vcc
	v_lshlrev_b64 v[0:1], 2, v[3:4]
	ds_read2_b32 v[5:6], v9 offset0:136 offset1:204
	v_add_co_u32_e32 v0, vcc, v2, v0
	v_addc_co_u32_e32 v1, vcc, v10, v1, vcc
	s_waitcnt lgkmcnt(1)
	global_store_dword v[0:1], v7, off
	v_add_u32_e32 v0, 0x44, v3
	v_mov_b32_e32 v1, v4
	v_lshlrev_b64 v[0:1], 2, v[0:1]
	v_add_u32_e32 v7, 0x400, v9
	v_add_co_u32_e32 v0, vcc, v2, v0
	v_addc_co_u32_e32 v1, vcc, v10, v1, vcc
	global_store_dword v[0:1], v8, off
	v_add_u32_e32 v0, 0x88, v3
	v_mov_b32_e32 v1, v4
	v_lshlrev_b64 v[0:1], 2, v[0:1]
	v_add_co_u32_e32 v0, vcc, v2, v0
	v_addc_co_u32_e32 v1, vcc, v10, v1, vcc
	s_waitcnt lgkmcnt(0)
	global_store_dword v[0:1], v5, off
	v_add_u32_e32 v0, 0xcc, v3
	v_mov_b32_e32 v1, v4
	v_lshlrev_b64 v[0:1], 2, v[0:1]
	v_add_co_u32_e32 v0, vcc, v2, v0
	v_addc_co_u32_e32 v1, vcc, v10, v1, vcc
	global_store_dword v[0:1], v6, off
	v_add_u32_e32 v0, 0x110, v3
	v_mov_b32_e32 v1, v4
	ds_read2_b32 v[5:6], v7 offset0:16 offset1:84
	v_lshlrev_b64 v[0:1], 2, v[0:1]
	v_add_co_u32_e32 v0, vcc, v2, v0
	v_addc_co_u32_e32 v1, vcc, v10, v1, vcc
	s_waitcnt lgkmcnt(0)
	global_store_dword v[0:1], v5, off
	v_add_u32_e32 v0, 0x154, v3
	v_mov_b32_e32 v1, v4
	v_lshlrev_b64 v[0:1], 2, v[0:1]
	v_add_co_u32_e32 v0, vcc, v2, v0
	v_addc_co_u32_e32 v1, vcc, v10, v1, vcc
	global_store_dword v[0:1], v6, off
	v_add_u32_e32 v0, 0x198, v3
	v_mov_b32_e32 v1, v4
	ds_read2_b32 v[5:6], v7 offset0:152 offset1:220
	v_lshlrev_b64 v[0:1], 2, v[0:1]
	v_add_u32_e32 v7, 0x800, v9
	v_add_co_u32_e32 v0, vcc, v2, v0
	v_addc_co_u32_e32 v1, vcc, v10, v1, vcc
	s_waitcnt lgkmcnt(0)
	global_store_dword v[0:1], v5, off
	v_add_u32_e32 v0, 0x1dc, v3
	v_mov_b32_e32 v1, v4
	v_lshlrev_b64 v[0:1], 2, v[0:1]
	v_add_co_u32_e32 v0, vcc, v2, v0
	v_addc_co_u32_e32 v1, vcc, v10, v1, vcc
	global_store_dword v[0:1], v6, off
	v_add_u32_e32 v0, 0x220, v3
	v_mov_b32_e32 v1, v4
	ds_read2_b32 v[5:6], v7 offset0:32 offset1:100
	v_lshlrev_b64 v[0:1], 2, v[0:1]
	v_add_co_u32_e32 v0, vcc, v2, v0
	v_addc_co_u32_e32 v1, vcc, v10, v1, vcc
	s_waitcnt lgkmcnt(0)
	global_store_dword v[0:1], v5, off
	v_add_u32_e32 v0, 0x264, v3
	v_mov_b32_e32 v1, v4
	v_lshlrev_b64 v[0:1], 2, v[0:1]
	v_add_co_u32_e32 v0, vcc, v2, v0
	v_addc_co_u32_e32 v1, vcc, v10, v1, vcc
	global_store_dword v[0:1], v6, off
	v_add_u32_e32 v0, 0x2a8, v3
	v_mov_b32_e32 v1, v4
	ds_read2_b32 v[5:6], v7 offset0:168 offset1:236
	v_lshlrev_b64 v[0:1], 2, v[0:1]
	v_add_u32_e32 v7, 0xc00, v9
	v_add_co_u32_e32 v0, vcc, v2, v0
	v_addc_co_u32_e32 v1, vcc, v10, v1, vcc
	s_waitcnt lgkmcnt(0)
	global_store_dword v[0:1], v5, off
	v_add_u32_e32 v0, 0x2ec, v3
	v_mov_b32_e32 v1, v4
	v_lshlrev_b64 v[0:1], 2, v[0:1]
	v_add_co_u32_e32 v0, vcc, v2, v0
	v_addc_co_u32_e32 v1, vcc, v10, v1, vcc
	global_store_dword v[0:1], v6, off
	v_add_u32_e32 v0, 0x330, v3
	v_mov_b32_e32 v1, v4
	ds_read2_b32 v[5:6], v7 offset0:48 offset1:116
	v_lshlrev_b64 v[0:1], 2, v[0:1]
	v_add_co_u32_e32 v0, vcc, v2, v0
	v_addc_co_u32_e32 v1, vcc, v10, v1, vcc
	s_waitcnt lgkmcnt(0)
	global_store_dword v[0:1], v5, off
	v_add_u32_e32 v0, 0x374, v3
	v_mov_b32_e32 v1, v4
	v_lshlrev_b64 v[0:1], 2, v[0:1]
	v_add_co_u32_e32 v0, vcc, v2, v0
	v_addc_co_u32_e32 v1, vcc, v10, v1, vcc
	global_store_dword v[0:1], v6, off
	v_add_u32_e32 v0, 0x3b8, v3
	v_mov_b32_e32 v1, v4
	ds_read2_b32 v[5:6], v7 offset0:184 offset1:252
	v_lshlrev_b64 v[0:1], 2, v[0:1]
	v_add_co_u32_e32 v0, vcc, v2, v0
	v_addc_co_u32_e32 v1, vcc, v10, v1, vcc
	s_waitcnt lgkmcnt(0)
	global_store_dword v[0:1], v5, off
	v_add_u32_e32 v0, 0x3fc, v3
	v_mov_b32_e32 v1, v4
	v_lshlrev_b64 v[0:1], 2, v[0:1]
	v_add_u32_e32 v3, 0x440, v3
	v_add_co_u32_e32 v0, vcc, v2, v0
	v_addc_co_u32_e32 v1, vcc, v10, v1, vcc
	ds_read_b32 v5, v9 offset:4352
	global_store_dword v[0:1], v6, off
	v_lshlrev_b64 v[0:1], 2, v[3:4]
	v_add_co_u32_e32 v0, vcc, v2, v0
	v_addc_co_u32_e32 v1, vcc, v10, v1, vcc
	s_waitcnt lgkmcnt(0)
	global_store_dword v[0:1], v5, off
.LBB0_30:
	s_endpgm
	.section	.rodata,"a",@progbits
	.p2align	6, 0x0
	.amdhsa_kernel fft_rtc_fwd_len1156_factors_17_2_17_2_wgs_204_tpt_68_halfLds_half_op_CI_CI_unitstride_sbrr_C2R_dirReg
		.amdhsa_group_segment_fixed_size 0
		.amdhsa_private_segment_fixed_size 0
		.amdhsa_kernarg_size 104
		.amdhsa_user_sgpr_count 6
		.amdhsa_user_sgpr_private_segment_buffer 1
		.amdhsa_user_sgpr_dispatch_ptr 0
		.amdhsa_user_sgpr_queue_ptr 0
		.amdhsa_user_sgpr_kernarg_segment_ptr 1
		.amdhsa_user_sgpr_dispatch_id 0
		.amdhsa_user_sgpr_flat_scratch_init 0
		.amdhsa_user_sgpr_private_segment_size 0
		.amdhsa_uses_dynamic_stack 0
		.amdhsa_system_sgpr_private_segment_wavefront_offset 0
		.amdhsa_system_sgpr_workgroup_id_x 1
		.amdhsa_system_sgpr_workgroup_id_y 0
		.amdhsa_system_sgpr_workgroup_id_z 0
		.amdhsa_system_sgpr_workgroup_info 0
		.amdhsa_system_vgpr_workitem_id 0
		.amdhsa_next_free_vgpr 94
		.amdhsa_next_free_sgpr 32
		.amdhsa_reserve_vcc 1
		.amdhsa_reserve_flat_scratch 0
		.amdhsa_float_round_mode_32 0
		.amdhsa_float_round_mode_16_64 0
		.amdhsa_float_denorm_mode_32 3
		.amdhsa_float_denorm_mode_16_64 3
		.amdhsa_dx10_clamp 1
		.amdhsa_ieee_mode 1
		.amdhsa_fp16_overflow 0
		.amdhsa_exception_fp_ieee_invalid_op 0
		.amdhsa_exception_fp_denorm_src 0
		.amdhsa_exception_fp_ieee_div_zero 0
		.amdhsa_exception_fp_ieee_overflow 0
		.amdhsa_exception_fp_ieee_underflow 0
		.amdhsa_exception_fp_ieee_inexact 0
		.amdhsa_exception_int_div_zero 0
	.end_amdhsa_kernel
	.text
.Lfunc_end0:
	.size	fft_rtc_fwd_len1156_factors_17_2_17_2_wgs_204_tpt_68_halfLds_half_op_CI_CI_unitstride_sbrr_C2R_dirReg, .Lfunc_end0-fft_rtc_fwd_len1156_factors_17_2_17_2_wgs_204_tpt_68_halfLds_half_op_CI_CI_unitstride_sbrr_C2R_dirReg
                                        ; -- End function
	.section	.AMDGPU.csdata,"",@progbits
; Kernel info:
; codeLenInByte = 16636
; NumSgprs: 36
; NumVgprs: 94
; ScratchSize: 0
; MemoryBound: 0
; FloatMode: 240
; IeeeMode: 1
; LDSByteSize: 0 bytes/workgroup (compile time only)
; SGPRBlocks: 4
; VGPRBlocks: 23
; NumSGPRsForWavesPerEU: 36
; NumVGPRsForWavesPerEU: 94
; Occupancy: 2
; WaveLimiterHint : 1
; COMPUTE_PGM_RSRC2:SCRATCH_EN: 0
; COMPUTE_PGM_RSRC2:USER_SGPR: 6
; COMPUTE_PGM_RSRC2:TRAP_HANDLER: 0
; COMPUTE_PGM_RSRC2:TGID_X_EN: 1
; COMPUTE_PGM_RSRC2:TGID_Y_EN: 0
; COMPUTE_PGM_RSRC2:TGID_Z_EN: 0
; COMPUTE_PGM_RSRC2:TIDIG_COMP_CNT: 0
	.type	__hip_cuid_f8555844fa4a0aae,@object ; @__hip_cuid_f8555844fa4a0aae
	.section	.bss,"aw",@nobits
	.globl	__hip_cuid_f8555844fa4a0aae
__hip_cuid_f8555844fa4a0aae:
	.byte	0                               ; 0x0
	.size	__hip_cuid_f8555844fa4a0aae, 1

	.ident	"AMD clang version 19.0.0git (https://github.com/RadeonOpenCompute/llvm-project roc-6.4.0 25133 c7fe45cf4b819c5991fe208aaa96edf142730f1d)"
	.section	".note.GNU-stack","",@progbits
	.addrsig
	.addrsig_sym __hip_cuid_f8555844fa4a0aae
	.amdgpu_metadata
---
amdhsa.kernels:
  - .args:
      - .actual_access:  read_only
        .address_space:  global
        .offset:         0
        .size:           8
        .value_kind:     global_buffer
      - .offset:         8
        .size:           8
        .value_kind:     by_value
      - .actual_access:  read_only
        .address_space:  global
        .offset:         16
        .size:           8
        .value_kind:     global_buffer
      - .actual_access:  read_only
        .address_space:  global
        .offset:         24
        .size:           8
        .value_kind:     global_buffer
      - .actual_access:  read_only
        .address_space:  global
        .offset:         32
        .size:           8
        .value_kind:     global_buffer
      - .offset:         40
        .size:           8
        .value_kind:     by_value
      - .actual_access:  read_only
        .address_space:  global
        .offset:         48
        .size:           8
        .value_kind:     global_buffer
      - .actual_access:  read_only
        .address_space:  global
        .offset:         56
        .size:           8
        .value_kind:     global_buffer
      - .offset:         64
        .size:           4
        .value_kind:     by_value
      - .actual_access:  read_only
        .address_space:  global
        .offset:         72
        .size:           8
        .value_kind:     global_buffer
      - .actual_access:  read_only
        .address_space:  global
        .offset:         80
        .size:           8
        .value_kind:     global_buffer
      - .actual_access:  read_only
        .address_space:  global
        .offset:         88
        .size:           8
        .value_kind:     global_buffer
      - .actual_access:  write_only
        .address_space:  global
        .offset:         96
        .size:           8
        .value_kind:     global_buffer
    .group_segment_fixed_size: 0
    .kernarg_segment_align: 8
    .kernarg_segment_size: 104
    .language:       OpenCL C
    .language_version:
      - 2
      - 0
    .max_flat_workgroup_size: 204
    .name:           fft_rtc_fwd_len1156_factors_17_2_17_2_wgs_204_tpt_68_halfLds_half_op_CI_CI_unitstride_sbrr_C2R_dirReg
    .private_segment_fixed_size: 0
    .sgpr_count:     36
    .sgpr_spill_count: 0
    .symbol:         fft_rtc_fwd_len1156_factors_17_2_17_2_wgs_204_tpt_68_halfLds_half_op_CI_CI_unitstride_sbrr_C2R_dirReg.kd
    .uniform_work_group_size: 1
    .uses_dynamic_stack: false
    .vgpr_count:     94
    .vgpr_spill_count: 0
    .wavefront_size: 64
amdhsa.target:   amdgcn-amd-amdhsa--gfx906
amdhsa.version:
  - 1
  - 2
...

	.end_amdgpu_metadata
